;; amdgpu-corpus repo=ROCm/rocFFT kind=compiled arch=gfx950 opt=O3
	.text
	.amdgcn_target "amdgcn-amd-amdhsa--gfx950"
	.amdhsa_code_object_version 6
	.protected	bluestein_single_fwd_len1323_dim1_sp_op_CI_CI ; -- Begin function bluestein_single_fwd_len1323_dim1_sp_op_CI_CI
	.globl	bluestein_single_fwd_len1323_dim1_sp_op_CI_CI
	.p2align	8
	.type	bluestein_single_fwd_len1323_dim1_sp_op_CI_CI,@function
bluestein_single_fwd_len1323_dim1_sp_op_CI_CI: ; @bluestein_single_fwd_len1323_dim1_sp_op_CI_CI
; %bb.0:
	s_load_dwordx4 s[8:11], s[0:1], 0x28
	v_mul_u32_u24_e32 v1, 0x15b, v0
	v_mov_b32_e32 v65, 0
	v_add_u32_sdwa v66, s2, v1 dst_sel:DWORD dst_unused:UNUSED_PAD src0_sel:DWORD src1_sel:WORD_1
	v_mov_b32_e32 v67, v65
	s_waitcnt lgkmcnt(0)
	v_cmp_gt_u64_e32 vcc, s[8:9], v[66:67]
	s_and_saveexec_b64 s[2:3], vcc
	s_cbranch_execz .LBB0_31
; %bb.1:
	s_load_dwordx4 s[4:7], s[0:1], 0x18
	s_load_dwordx2 s[14:15], s[0:1], 0x0
	v_mov_b32_e32 v2, s10
	v_mov_b32_e32 v3, s11
	s_movk_i32 s2, 0xbd
	s_waitcnt lgkmcnt(0)
	s_load_dwordx4 s[8:11], s[4:5], 0x0
	v_mul_lo_u16_sdwa v1, v1, s2 dst_sel:DWORD dst_unused:UNUSED_PAD src0_sel:WORD_1 src1_sel:DWORD
	v_sub_u16_e32 v64, v0, v1
	v_lshlrev_b32_e32 v60, 3, v64
	v_mov_b32_e32 v61, v65
	s_waitcnt lgkmcnt(0)
	v_mad_u64_u32 v[0:1], s[2:3], s10, v66, 0
	v_mov_b32_e32 v4, v1
	v_mad_u64_u32 v[4:5], s[2:3], s11, v66, v[4:5]
	v_mov_b32_e32 v1, v4
	v_mad_u64_u32 v[4:5], s[2:3], s8, v64, 0
	v_mov_b32_e32 v6, v5
	v_mad_u64_u32 v[6:7], s[2:3], s9, v64, v[6:7]
	s_mul_i32 s2, s9, 0x1b9
	s_mul_hi_u32 s3, s8, 0x1b9
	v_mov_b32_e32 v5, v6
	v_lshl_add_u64 v[0:1], v[0:1], 3, v[2:3]
	s_add_i32 s3, s3, s2
	s_mul_i32 s2, s8, 0x1b9
	v_lshl_add_u64 v[0:1], v[4:5], 3, v[0:1]
	s_lshl_b64 s[16:17], s[2:3], 3
	v_lshl_add_u64 v[62:63], s[14:15], 0, v[60:61]
	v_lshl_add_u64 v[2:3], v[0:1], 0, s[16:17]
	s_movk_i32 s2, 0x1000
	s_mul_hi_u32 s3, s8, 0xfffffd4b
	global_load_dwordx2 v[76:77], v60, s[14:15]
	v_lshl_add_u64 v[4:5], v[2:3], 0, s[16:17]
	global_load_dwordx2 v[6:7], v[0:1], off
	global_load_dwordx2 v[8:9], v[2:3], off
	;; [unrolled: 1-line block ×3, first 2 shown]
	v_add_co_u32_e32 v0, vcc, s2, v62
	s_mul_i32 s2, s9, 0xfffffd4b
	s_sub_i32 s3, s3, s8
	s_add_i32 s19, s3, s2
	s_mul_i32 s18, s8, 0xfffffd4b
	global_load_dwordx2 v[78:79], v60, s[14:15] offset:3528
	global_load_dwordx2 v[74:75], v60, s[14:15] offset:1512
	v_lshl_add_u64 v[2:3], s[18:19], 3, v[4:5]
	v_addc_co_u32_e32 v1, vcc, 0, v63, vcc
	v_lshl_add_u64 v[4:5], v[2:3], 0, s[16:17]
	s_movk_i32 s2, 0x2000
	global_load_dwordx2 v[72:73], v[0:1], off offset:2960
	global_load_dwordx2 v[12:13], v[2:3], off
	global_load_dwordx2 v[14:15], v[4:5], off
	global_load_dwordx2 v[68:69], v[0:1], off offset:944
	v_lshl_add_u64 v[2:3], v[4:5], 0, s[16:17]
	v_add_co_u32_e32 v4, vcc, s2, v62
	s_load_dwordx2 s[12:13], s[0:1], 0x38
	s_nop 0
	v_addc_co_u32_e32 v5, vcc, 0, v63, vcc
	global_load_dwordx2 v[70:71], v[4:5], off offset:376
	global_load_dwordx2 v[16:17], v[2:3], off
	s_load_dwordx4 s[8:11], s[6:7], 0x0
	v_cmp_lt_u16_e64 s[2:3], 62, v64
	v_cmp_gt_u16_e64 s[4:5], 63, v64
	s_waitcnt vmcnt(10)
	v_mul_f32_e32 v4, v7, v77
	v_mul_f32_e32 v5, v6, v77
	v_fmac_f32_e32 v4, v6, v76
	v_fma_f32 v5, v7, v76, -v5
	s_waitcnt vmcnt(7)
	v_mul_f32_e32 v6, v9, v79
	v_mul_f32_e32 v7, v8, v79
	v_fmac_f32_e32 v6, v8, v78
	v_fma_f32 v7, v9, v78, -v7
	ds_write_b64 v60, v[6:7] offset:3528
	s_waitcnt vmcnt(4)
	v_mul_f32_e32 v6, v13, v75
	v_mul_f32_e32 v8, v11, v73
	;; [unrolled: 1-line block ×4, first 2 shown]
	v_fmac_f32_e32 v8, v10, v72
	v_fma_f32 v9, v11, v72, -v9
	v_fmac_f32_e32 v6, v12, v74
	v_fma_f32 v7, v13, v74, -v7
	ds_write_b64 v60, v[8:9] offset:7056
	s_waitcnt vmcnt(2)
	v_mul_f32_e32 v8, v15, v69
	v_mul_f32_e32 v9, v14, v69
	ds_write2_b64 v60, v[4:5], v[6:7] offset1:189
	s_waitcnt vmcnt(0)
	v_mul_f32_e32 v4, v17, v71
	v_mul_f32_e32 v5, v16, v71
	v_fmac_f32_e32 v8, v14, v68
	v_fma_f32 v9, v15, v68, -v9
	v_fmac_f32_e32 v4, v16, v70
	v_fma_f32 v5, v17, v70, -v5
	ds_write_b64 v60, v[8:9] offset:5040
	ds_write_b64 v60, v[4:5] offset:8568
	s_and_saveexec_b64 s[6:7], s[4:5]
	s_cbranch_execz .LBB0_3
; %bb.2:
	v_lshl_add_u64 v[2:3], s[18:19], 3, v[2:3]
	global_load_dwordx2 v[4:5], v[2:3], off
	v_lshl_add_u64 v[2:3], v[2:3], 0, s[16:17]
	global_load_dwordx2 v[6:7], v[2:3], off
	global_load_dwordx2 v[8:9], v[62:63], off offset:3024
	global_load_dwordx2 v[10:11], v[0:1], off offset:2456
	v_lshl_add_u64 v[0:1], v[2:3], 0, s[16:17]
	v_add_co_u32_e32 v2, vcc, 0x2000, v62
	s_nop 1
	v_addc_co_u32_e32 v3, vcc, 0, v63, vcc
	global_load_dwordx2 v[12:13], v[2:3], off offset:1888
	global_load_dwordx2 v[14:15], v[0:1], off
	s_waitcnt vmcnt(3)
	v_mul_f32_e32 v0, v5, v9
	v_mul_f32_e32 v1, v4, v9
	v_fmac_f32_e32 v0, v4, v8
	v_fma_f32 v1, v5, v8, -v1
	s_waitcnt vmcnt(2)
	v_mul_f32_e32 v2, v7, v11
	v_mul_f32_e32 v3, v6, v11
	ds_write_b64 v60, v[0:1] offset:3024
	v_fmac_f32_e32 v2, v6, v10
	s_waitcnt vmcnt(0)
	v_mul_f32_e32 v0, v15, v13
	v_mul_f32_e32 v1, v14, v13
	v_fma_f32 v3, v7, v10, -v3
	v_fmac_f32_e32 v0, v14, v12
	v_fma_f32 v1, v15, v12, -v1
	ds_write_b64 v60, v[2:3] offset:6552
	ds_write_b64 v60, v[0:1] offset:10080
.LBB0_3:
	s_or_b64 exec, exec, s[6:7]
	v_add_u32_e32 v4, 0xc00, v60
	v_add_u32_e32 v8, 0x1a00, v60
	s_waitcnt lgkmcnt(0)
	s_barrier
	ds_read2_b64 v[0:3], v60 offset1:189
	ds_read2_b64 v[4:7], v4 offset0:57 offset1:246
	ds_read2_b64 v[8:11], v8 offset0:50 offset1:239
                                        ; implicit-def: $vgpr12
                                        ; implicit-def: $vgpr14
                                        ; implicit-def: $vgpr16
	s_and_saveexec_b64 s[6:7], s[4:5]
	s_cbranch_execz .LBB0_5
; %bb.4:
	ds_read_b64 v[12:13], v60 offset:3024
	ds_read_b64 v[14:15], v60 offset:6552
	;; [unrolled: 1-line block ×3, first 2 shown]
.LBB0_5:
	s_or_b64 exec, exec, s[6:7]
	s_mov_b64 s[6:7], 0xbd
	v_lshl_add_u64 v[38:39], v[64:65], 0, s[6:7]
	s_mov_b64 s[6:7], 0x17a
	s_waitcnt lgkmcnt(1)
	v_pk_add_f32 v[22:23], v[12:13], v[14:15]
	v_lshl_add_u64 v[36:37], v[64:65], 0, s[6:7]
	s_waitcnt lgkmcnt(0)
	v_pk_add_f32 v[24:25], v[22:23], v[16:17]
	v_pk_add_f32 v[22:23], v[14:15], v[16:17]
	v_pk_add_f32 v[14:15], v[14:15], v[16:17] neg_lo:[0,1] neg_hi:[0,1]
	s_mov_b32 s6, 0x3f5db3d7
	v_pk_fma_f32 v[12:13], v[22:23], 0.5, v[12:13] op_sel_hi:[1,0,1] neg_lo:[1,0,0] neg_hi:[1,0,0]
	v_pk_mul_f32 v[14:15], v[14:15], s[6:7] op_sel_hi:[1,0]
	v_pk_add_f32 v[18:19], v[0:1], v[4:5]
	v_pk_add_f32 v[26:27], v[12:13], v[14:15] op_sel:[0,1] op_sel_hi:[1,0] neg_lo:[0,1] neg_hi:[0,1]
	v_pk_add_f32 v[28:29], v[12:13], v[14:15] op_sel:[0,1] op_sel_hi:[1,0]
	v_pk_add_f32 v[14:15], v[4:5], v[8:9]
	v_pk_add_f32 v[4:5], v[4:5], v[8:9] neg_lo:[0,1] neg_hi:[0,1]
	v_mul_lo_u16_e32 v12, 3, v64
	v_pk_fma_f32 v[0:1], v[14:15], 0.5, v[0:1] op_sel_hi:[1,0,1] neg_lo:[1,0,0] neg_hi:[1,0,0]
	v_pk_mul_f32 v[4:5], v[4:5], s[6:7] op_sel_hi:[1,0]
	v_lshlrev_b32_e32 v61, 3, v12
	v_pk_add_f32 v[12:13], v[18:19], v[8:9]
	v_pk_add_f32 v[8:9], v[0:1], v[4:5] op_sel:[0,1] op_sel_hi:[1,0]
	v_pk_add_f32 v[0:1], v[0:1], v[4:5] op_sel:[0,1] op_sel_hi:[1,0] neg_lo:[0,1] neg_hi:[0,1]
	v_mov_b32_e32 v4, v8
	v_mov_b32_e32 v5, v1
	s_barrier
	ds_write2_b64 v61, v[12:13], v[4:5] offset1:1
	v_pk_add_f32 v[4:5], v[6:7], v[10:11]
	v_pk_add_f32 v[20:21], v[2:3], v[6:7]
	v_pk_fma_f32 v[2:3], v[4:5], 0.5, v[2:3] op_sel_hi:[1,0,1] neg_lo:[1,0,0] neg_hi:[1,0,0]
	v_pk_add_f32 v[4:5], v[6:7], v[10:11] neg_lo:[0,1] neg_hi:[0,1]
	v_mov_b32_e32 v1, v9
	v_pk_mul_f32 v[4:5], v[4:5], s[6:7] op_sel_hi:[1,0]
	ds_write_b64 v61, v[0:1] offset:16
	v_mul_u32_u24_e32 v0, 3, v38
	v_pk_add_f32 v[6:7], v[2:3], v[4:5] op_sel:[0,1] op_sel_hi:[1,0]
	v_pk_add_f32 v[2:3], v[2:3], v[4:5] op_sel:[0,1] op_sel_hi:[1,0] neg_lo:[0,1] neg_hi:[0,1]
	v_lshlrev_b32_e32 v65, 3, v0
	v_pk_add_f32 v[0:1], v[20:21], v[10:11]
	v_mov_b32_e32 v4, v6
	v_mov_b32_e32 v5, v3
	;; [unrolled: 1-line block ×3, first 2 shown]
	v_mul_u32_u24_e32 v67, 3, v36
	ds_write2_b64 v65, v[0:1], v[4:5] offset1:1
	ds_write_b64 v65, v[2:3] offset:16
	s_and_saveexec_b64 s[6:7], s[4:5]
	s_cbranch_execz .LBB0_7
; %bb.6:
	v_lshlrev_b32_e32 v2, 3, v67
	v_mov_b32_e32 v0, v28
	v_mov_b32_e32 v1, v27
	ds_write2_b64 v2, v[24:25], v[0:1] offset1:1
	v_mov_b32_e32 v0, v26
	v_mov_b32_e32 v1, v29
	ds_write_b64 v2, v[0:1] offset:16
.LBB0_7:
	s_or_b64 exec, exec, s[6:7]
	v_add_u32_e32 v0, 0xc00, v60
	s_waitcnt lgkmcnt(0)
	s_barrier
	ds_read2_b64 v[20:23], v0 offset0:57 offset1:246
	v_add_u32_e32 v0, 0x1a00, v60
	s_load_dwordx2 s[0:1], s[0:1], 0x8
	ds_read2_b64 v[4:7], v60 offset1:189
	ds_read2_b64 v[16:19], v0 offset0:50 offset1:239
	s_and_saveexec_b64 s[6:7], s[2:3]
	s_xor_b64 s[6:7], exec, s[6:7]
	s_andn2_saveexec_b64 s[6:7], s[6:7]
	s_cbranch_execz .LBB0_9
; %bb.8:
	ds_read_b64 v[0:1], v60 offset:6552
	ds_read_b64 v[26:27], v60 offset:10080
	;; [unrolled: 1-line block ×3, first 2 shown]
	s_waitcnt lgkmcnt(0)
	v_mov_b32_e32 v28, v0
	v_mov_b32_e32 v29, v27
	v_mov_b32_e32 v27, v1
.LBB0_9:
	s_or_b64 exec, exec, s[6:7]
	s_movk_i32 s6, 0xab
	v_mul_lo_u16_sdwa v0, v64, s6 dst_sel:DWORD dst_unused:UNUSED_PAD src0_sel:BYTE_0 src1_sel:DWORD
	v_lshrrev_b16_e32 v30, 9, v0
	v_mul_lo_u16_e32 v0, 3, v30
	v_sub_u16_e32 v0, v64, v0
	s_mov_b32 s6, 0xaaab
	v_and_b32_e32 v31, 0xff, v0
	v_mul_u32_u24_sdwa v0, v38, s6 dst_sel:DWORD dst_unused:UNUSED_PAD src0_sel:WORD_0 src1_sel:DWORD
	v_lshrrev_b32_e32 v32, 17, v0
	v_mul_lo_u16_e32 v0, 3, v32
	v_sub_u16_e32 v33, v38, v0
	v_mul_u32_u24_sdwa v0, v36, s6 dst_sel:DWORD dst_unused:UNUSED_PAD src0_sel:WORD_0 src1_sel:DWORD
	v_lshrrev_b32_e32 v37, 17, v0
	v_mul_lo_u16_e32 v0, 3, v37
	v_sub_u16_e32 v39, v36, v0
	v_lshlrev_b16_e32 v0, 1, v39
	v_lshlrev_b32_e32 v8, 4, v31
	v_lshlrev_b32_e32 v0, 3, v0
	v_lshlrev_b16_e32 v12, 1, v33
	s_waitcnt lgkmcnt(0)
	global_load_dwordx4 v[0:3], v0, s[0:1]
	v_lshlrev_b32_e32 v12, 3, v12
	global_load_dwordx4 v[8:11], v8, s[0:1]
	v_mul_u32_u24_e32 v30, 9, v30
	global_load_dwordx4 v[12:15], v12, s[0:1]
	v_mad_legacy_u16 v32, v32, 9, v33
	v_add_lshl_u32 v97, v30, v31, 3
	v_lshlrev_b32_e32 v96, 3, v32
	s_mov_b32 s6, 0x3f5db3d7
	v_mad_legacy_u16 v98, v37, 9, v39
	s_barrier
	s_waitcnt vmcnt(2)
	v_pk_mul_f32 v[30:31], v[26:27], v[0:1] op_sel:[1,0]
	v_pk_mul_f32 v[32:33], v[28:29], v[2:3] op_sel:[1,0]
	s_waitcnt vmcnt(1)
	v_pk_mul_f32 v[34:35], v[20:21], v[8:9] op_sel:[0,1]
	v_mov_b32_e32 v40, v11
	s_waitcnt vmcnt(0)
	v_pk_mul_f32 v[42:43], v[22:23], v[12:13] op_sel:[0,1]
	v_mov_b32_e32 v44, v15
	v_pk_fma_f32 v[46:47], v[28:29], v[0:1], v[30:31] op_sel:[0,0,1] op_sel_hi:[1,1,0] neg_lo:[0,0,1] neg_hi:[0,0,1]
	v_pk_fma_f32 v[28:29], v[28:29], v[0:1], v[30:31] op_sel:[0,0,1] op_sel_hi:[0,1,0]
	v_pk_fma_f32 v[30:31], v[26:27], v[2:3], v[32:33] op_sel:[0,0,1] op_sel_hi:[1,1,0] neg_lo:[0,0,1] neg_hi:[0,0,1]
	v_pk_fma_f32 v[26:27], v[26:27], v[2:3], v[32:33] op_sel:[0,0,1] op_sel_hi:[0,1,0]
	v_pk_fma_f32 v[32:33], v[20:21], v[8:9], v[34:35] op_sel:[0,0,1] op_sel_hi:[1,1,0] neg_lo:[0,0,1] neg_hi:[0,0,1]
	v_pk_fma_f32 v[20:21], v[20:21], v[8:9], v[34:35] op_sel:[0,0,1] op_sel_hi:[1,0,0]
	v_pk_mul_f32 v[34:35], v[16:17], v[40:41] op_sel_hi:[1,0]
	v_pk_fma_f32 v[48:49], v[22:23], v[12:13], v[42:43] op_sel:[0,0,1] op_sel_hi:[1,1,0] neg_lo:[0,0,1] neg_hi:[0,0,1]
	v_pk_fma_f32 v[22:23], v[22:23], v[12:13], v[42:43] op_sel:[0,0,1] op_sel_hi:[1,0,0]
	v_pk_mul_f32 v[40:41], v[18:19], v[44:45] op_sel_hi:[1,0]
	v_mov_b32_e32 v47, v29
	v_mov_b32_e32 v31, v27
	;; [unrolled: 1-line block ×3, first 2 shown]
	v_pk_fma_f32 v[20:21], v[16:17], v[10:11], v[34:35] op_sel:[0,0,1] op_sel_hi:[1,1,0] neg_lo:[0,0,1] neg_hi:[0,0,1]
	v_pk_fma_f32 v[16:17], v[16:17], v[10:11], v[34:35] op_sel:[0,0,1] op_sel_hi:[1,0,0]
	v_mov_b32_e32 v49, v23
	v_pk_fma_f32 v[22:23], v[18:19], v[14:15], v[40:41] op_sel:[0,0,1] op_sel_hi:[1,1,0] neg_lo:[0,0,1] neg_hi:[0,0,1]
	v_pk_fma_f32 v[18:19], v[18:19], v[14:15], v[40:41] op_sel:[0,0,1] op_sel_hi:[1,0,0]
	v_pk_add_f32 v[28:29], v[46:47], v[30:31]
	v_mov_b32_e32 v21, v17
	v_pk_add_f32 v[16:17], v[4:5], v[32:33]
	v_pk_add_f32 v[26:27], v[24:25], v[46:47]
	v_pk_add_f32 v[34:35], v[46:47], v[30:31] neg_lo:[0,1] neg_hi:[0,1]
	v_mov_b32_e32 v23, v19
	v_pk_fma_f32 v[24:25], v[28:29], 0.5, v[24:25] op_sel_hi:[1,0,1] neg_lo:[1,0,0] neg_hi:[1,0,0]
	v_pk_add_f32 v[16:17], v[16:17], v[20:21]
	v_pk_add_f32 v[28:29], v[32:33], v[20:21]
	v_pk_add_f32 v[20:21], v[32:33], v[20:21] neg_lo:[0,1] neg_hi:[0,1]
	v_pk_add_f32 v[18:19], v[6:7], v[48:49]
	v_pk_add_f32 v[40:41], v[26:27], v[30:31]
	v_pk_mul_f32 v[26:27], v[34:35], s[6:7] op_sel_hi:[1,0]
	v_pk_add_f32 v[30:31], v[48:49], v[22:23]
	v_pk_add_f32 v[32:33], v[48:49], v[22:23] neg_lo:[0,1] neg_hi:[0,1]
	v_pk_fma_f32 v[4:5], v[28:29], 0.5, v[4:5] op_sel_hi:[1,0,1] neg_lo:[1,0,0] neg_hi:[1,0,0]
	v_pk_mul_f32 v[20:21], v[20:21], s[6:7] op_sel_hi:[1,0]
	v_pk_add_f32 v[18:19], v[18:19], v[22:23]
	v_pk_add_f32 v[42:43], v[24:25], v[26:27] op_sel:[0,1] op_sel_hi:[1,0] neg_lo:[0,1] neg_hi:[0,1]
	v_pk_add_f32 v[44:45], v[26:27], v[24:25] op_sel:[1,0] op_sel_hi:[0,1]
	v_pk_fma_f32 v[6:7], v[30:31], 0.5, v[6:7] op_sel_hi:[1,0,1] neg_lo:[1,0,0] neg_hi:[1,0,0]
	v_pk_mul_f32 v[22:23], v[32:33], s[6:7] op_sel_hi:[1,0]
	v_pk_add_f32 v[24:25], v[4:5], v[20:21] op_sel:[0,1] op_sel_hi:[1,0]
	v_pk_add_f32 v[4:5], v[4:5], v[20:21] op_sel:[0,1] op_sel_hi:[1,0] neg_lo:[0,1] neg_hi:[0,1]
	v_pk_add_f32 v[20:21], v[6:7], v[22:23] op_sel:[0,1] op_sel_hi:[1,0] neg_lo:[0,1] neg_hi:[0,1]
	v_pk_add_f32 v[6:7], v[6:7], v[22:23] op_sel:[0,1] op_sel_hi:[1,0]
	v_mov_b32_e32 v22, v24
	v_mov_b32_e32 v23, v5
	;; [unrolled: 1-line block ×6, first 2 shown]
	ds_write2_b64 v97, v[16:17], v[22:23] offset1:3
	ds_write_b64 v97, v[4:5] offset:48
	ds_write2_b64 v96, v[18:19], v[24:25] offset1:3
	ds_write_b64 v96, v[20:21] offset:48
	s_and_saveexec_b64 s[6:7], s[4:5]
	s_cbranch_execz .LBB0_11
; %bb.10:
	v_lshlrev_b32_e32 v6, 3, v98
	v_mov_b32_e32 v4, v44
	v_mov_b32_e32 v5, v43
	ds_write2_b64 v6, v[40:41], v[4:5] offset1:3
	v_mov_b32_e32 v4, v42
	v_mov_b32_e32 v5, v45
	ds_write_b64 v6, v[4:5] offset:48
.LBB0_11:
	s_or_b64 exec, exec, s[6:7]
	v_add_u32_e32 v4, 0xc00, v60
	s_waitcnt lgkmcnt(0)
	s_barrier
	ds_read2_b64 v[32:35], v4 offset0:57 offset1:246
	v_add_u32_e32 v4, 0x1a00, v60
	ds_read2_b64 v[24:27], v60 offset1:189
	ds_read2_b64 v[28:31], v4 offset0:50 offset1:239
	s_and_saveexec_b64 s[6:7], s[2:3]
	s_xor_b64 s[6:7], exec, s[6:7]
	s_andn2_saveexec_b64 s[6:7], s[6:7]
	s_cbranch_execz .LBB0_13
; %bb.12:
	ds_read_b64 v[4:5], v60 offset:6552
	ds_read_b64 v[42:43], v60 offset:10080
	;; [unrolled: 1-line block ×3, first 2 shown]
	s_waitcnt lgkmcnt(2)
	v_mov_b32_e32 v44, v4
	s_waitcnt lgkmcnt(1)
	v_mov_b32_e32 v45, v43
	v_mov_b32_e32 v43, v5
.LBB0_13:
	s_or_b64 exec, exec, s[6:7]
	v_mov_b32_e32 v4, 57
	v_mul_lo_u16_sdwa v4, v64, v4 dst_sel:DWORD dst_unused:UNUSED_PAD src0_sel:BYTE_0 src1_sel:DWORD
	v_lshrrev_b16_e32 v37, 9, v4
	v_mul_lo_u16_e32 v4, 9, v37
	v_sub_u16_e32 v4, v64, v4
	s_mov_b32 s6, 0xe38f
	v_and_b32_e32 v39, 0xff, v4
	v_mul_u32_u24_sdwa v4, v38, s6 dst_sel:DWORD dst_unused:UNUSED_PAD src0_sel:WORD_0 src1_sel:DWORD
	v_lshrrev_b32_e32 v46, 19, v4
	v_mul_lo_u16_e32 v4, 9, v46
	v_sub_u16_e32 v38, v38, v4
	v_lshlrev_b16_e32 v48, 4, v38
	v_mov_b32_e32 v49, 0
	v_lshlrev_b32_e32 v6, 4, v39
	v_lshl_add_u64 v[4:5], s[0:1], 0, v[48:49]
	global_load_dwordx4 v[20:23], v6, s[0:1] offset:48
	global_load_dwordx4 v[16:19], v[4:5], off offset:48
	v_mul_u32_u24_sdwa v4, v36, s6 dst_sel:DWORD dst_unused:UNUSED_PAD src0_sel:WORD_0 src1_sel:DWORD
	v_lshrrev_b32_e32 v84, 19, v4
	v_mul_lo_u16_e32 v4, 9, v84
	v_sub_u16_e32 v85, v36, v4
	v_lshlrev_b16_e32 v48, 4, v85
	v_lshl_add_u64 v[4:5], s[0:1], 0, v[48:49]
	global_load_dwordx4 v[4:7], v[4:5], off offset:48
	v_mul_u32_u24_e32 v36, 27, v37
	v_mad_legacy_u16 v37, v46, 27, v38
	v_add_lshl_u32 v101, v36, v39, 3
	v_lshlrev_b32_e32 v99, 3, v37
	s_mov_b32 s6, 0x3f5db3d7
	v_mad_legacy_u16 v102, v84, 27, v85
	s_waitcnt lgkmcnt(0)
	s_barrier
	s_waitcnt vmcnt(2)
	v_pk_mul_f32 v[36:37], v[32:33], v[20:21] op_sel:[0,1]
	v_mov_b32_e32 v38, v23
	s_waitcnt vmcnt(1)
	v_pk_mul_f32 v[46:47], v[34:35], v[16:17] op_sel:[0,1]
	v_mov_b32_e32 v48, v19
	v_pk_fma_f32 v[54:55], v[32:33], v[20:21], v[36:37] op_sel:[0,0,1] op_sel_hi:[1,1,0] neg_lo:[0,0,1] neg_hi:[0,0,1]
	v_pk_fma_f32 v[36:37], v[32:33], v[20:21], v[36:37] op_sel:[0,0,1] op_sel_hi:[1,0,0]
	v_pk_mul_f32 v[38:39], v[28:29], v[38:39] op_sel_hi:[1,0]
	v_pk_fma_f32 v[56:57], v[34:35], v[16:17], v[46:47] op_sel:[0,0,1] op_sel_hi:[1,1,0] neg_lo:[0,0,1] neg_hi:[0,0,1]
	s_waitcnt vmcnt(0)
	v_pk_mul_f32 v[50:51], v[42:43], v[4:5] op_sel:[1,0]
	v_pk_mul_f32 v[52:53], v[44:45], v[6:7] op_sel:[1,0]
	v_pk_fma_f32 v[46:47], v[34:35], v[16:17], v[46:47] op_sel:[0,0,1] op_sel_hi:[1,0,0]
	v_pk_mul_f32 v[58:59], v[30:31], v[48:49] op_sel_hi:[1,0]
	v_pk_fma_f32 v[34:35], v[44:45], v[4:5], v[50:51] op_sel:[0,0,1] op_sel_hi:[1,1,0] neg_lo:[0,0,1] neg_hi:[0,0,1]
	v_pk_fma_f32 v[44:45], v[44:45], v[4:5], v[50:51] op_sel:[0,0,1] op_sel_hi:[0,1,0]
	v_pk_fma_f32 v[32:33], v[42:43], v[6:7], v[52:53] op_sel:[0,0,1] op_sel_hi:[1,1,0] neg_lo:[0,0,1] neg_hi:[0,0,1]
	v_pk_fma_f32 v[42:43], v[42:43], v[6:7], v[52:53] op_sel:[0,0,1] op_sel_hi:[0,1,0]
	v_mov_b32_e32 v55, v37
	v_pk_fma_f32 v[36:37], v[28:29], v[22:23], v[38:39] op_sel:[0,0,1] op_sel_hi:[1,1,0] neg_lo:[0,0,1] neg_hi:[0,0,1]
	v_pk_fma_f32 v[28:29], v[28:29], v[22:23], v[38:39] op_sel:[0,0,1] op_sel_hi:[1,0,0]
	v_mov_b32_e32 v57, v47
	;; [unrolled: 3-line block ×3, first 2 shown]
	v_mov_b32_e32 v33, v43
	v_mov_b32_e32 v37, v29
	v_pk_add_f32 v[28:29], v[24:25], v[54:55]
	v_mov_b32_e32 v39, v31
	v_pk_add_f32 v[30:31], v[26:27], v[56:57]
	v_pk_add_f32 v[42:43], v[34:35], v[32:33]
	v_pk_add_f32 v[44:45], v[34:35], v[32:33] neg_lo:[0,1] neg_hi:[0,1]
	v_pk_add_f32 v[28:29], v[28:29], v[36:37]
	v_pk_add_f32 v[46:47], v[54:55], v[36:37]
	v_pk_add_f32 v[36:37], v[54:55], v[36:37] neg_lo:[0,1] neg_hi:[0,1]
	v_pk_add_f32 v[50:51], v[56:57], v[38:39]
	v_pk_add_f32 v[52:53], v[56:57], v[38:39] neg_lo:[0,1] neg_hi:[0,1]
	v_pk_add_f32 v[30:31], v[30:31], v[38:39]
	v_pk_fma_f32 v[38:39], v[42:43], 0.5, v[40:41] op_sel_hi:[1,0,1] neg_lo:[1,0,0] neg_hi:[1,0,0]
	v_pk_mul_f32 v[42:43], v[44:45], s[6:7] op_sel_hi:[1,0]
	v_pk_fma_f32 v[24:25], v[46:47], 0.5, v[24:25] op_sel_hi:[1,0,1] neg_lo:[1,0,0] neg_hi:[1,0,0]
	v_pk_mul_f32 v[36:37], v[36:37], s[6:7] op_sel_hi:[1,0]
	;; [unrolled: 2-line block ×3, first 2 shown]
	v_pk_add_f32 v[46:47], v[38:39], v[42:43] op_sel:[0,1] op_sel_hi:[1,0]
	v_pk_add_f32 v[80:81], v[38:39], v[42:43] op_sel:[0,1] op_sel_hi:[1,0] neg_lo:[0,1] neg_hi:[0,1]
	v_pk_add_f32 v[38:39], v[24:25], v[36:37] op_sel:[0,1] op_sel_hi:[1,0]
	v_pk_add_f32 v[24:25], v[24:25], v[36:37] op_sel:[0,1] op_sel_hi:[1,0] neg_lo:[0,1] neg_hi:[0,1]
	v_pk_add_f32 v[36:37], v[26:27], v[44:45] op_sel:[0,1] op_sel_hi:[1,0] neg_lo:[0,1] neg_hi:[0,1]
	v_pk_add_f32 v[26:27], v[26:27], v[44:45] op_sel:[0,1] op_sel_hi:[1,0]
	v_mov_b32_e32 v82, v46
	v_mov_b32_e32 v83, v81
	;; [unrolled: 1-line block ×9, first 2 shown]
	ds_write2_b64 v101, v[28:29], v[42:43] offset1:9
	ds_write_b64 v101, v[24:25] offset:144
	ds_write2_b64 v99, v[30:31], v[38:39] offset1:9
	ds_write_b64 v99, v[36:37] offset:144
	s_and_saveexec_b64 s[6:7], s[4:5]
	s_cbranch_execz .LBB0_15
; %bb.14:
	v_pk_add_f32 v[24:25], v[40:41], v[34:35]
	v_lshlrev_b32_e32 v26, 3, v102
	v_pk_add_f32 v[24:25], v[24:25], v[32:33]
	ds_write2_b64 v26, v[24:25], v[82:83] offset1:9
	ds_write_b64 v26, v[80:81] offset:144
.LBB0_15:
	s_or_b64 exec, exec, s[6:7]
	v_mov_b32_e32 v24, 19
	v_mul_lo_u16_sdwa v24, v64, v24 dst_sel:DWORD dst_unused:UNUSED_PAD src0_sel:BYTE_0 src1_sel:DWORD
	v_lshrrev_b16_e32 v48, 9, v24
	v_mul_lo_u16_e32 v24, 27, v48
	v_sub_u16_e32 v24, v64, v24
	v_and_b32_e32 v52, 0xff, v24
	v_mad_u64_u32 v[36:37], s[6:7], v52, 48, s[0:1]
	s_waitcnt lgkmcnt(0)
	s_barrier
	global_load_dwordx4 v[32:35], v[36:37], off offset:208
	global_load_dwordx4 v[28:31], v[36:37], off offset:192
	;; [unrolled: 1-line block ×3, first 2 shown]
	v_add_u32_e32 v103, 0xa00, v60
	v_add_u32_e32 v110, 0x1600, v60
	ds_read2_b64 v[36:39], v60 offset1:189
	ds_read_b64 v[50:51], v60 offset:9072
	ds_read2_b64 v[40:43], v103 offset0:58 offset1:247
	ds_read2_b64 v[44:47], v110 offset0:52 offset1:241
	v_mul_u32_u24_e32 v48, 0xbd, v48
	v_add_lshl_u32 v100, v48, v52, 3
	s_mov_b32 s6, 0x3eae86e6
	s_waitcnt lgkmcnt(1)
	v_mov_b32_e32 v55, v42
	s_waitcnt lgkmcnt(0)
	v_mov_b32_e32 v54, v47
	v_mov_b32_e32 v52, v41
	;; [unrolled: 1-line block ×3, first 2 shown]
	s_mov_b32 s7, 0xbf08b237
	s_mov_b32 s18, s7
	;; [unrolled: 1-line block ×5, first 2 shown]
	s_barrier
	s_mov_b32 s24, 0x3f3bfb3b
	s_waitcnt vmcnt(2)
	v_mul_f32_e32 v57, v43, v32
	v_mul_f32_e32 v59, v42, v33
	s_waitcnt vmcnt(0)
	v_mul_f32_e32 v58, v47, v25
	v_pk_mul_f32 v[88:89], v[38:39], v[28:29] op_sel_hi:[1,0]
	v_mov_b32_e32 v47, v43
	v_mov_b32_e32 v42, v25
	;; [unrolled: 1-line block ×3, first 2 shown]
	v_pk_mul_f32 v[94:95], v[50:51], v[26:27] op_sel_hi:[1,0]
	v_mov_b32_e32 v48, v27
	v_mul_f32_e32 v85, v45, v34
	v_mul_f32_e32 v87, v44, v35
	v_mul_f32_e32 v56, v41, v31
	v_mov_b32_e32 v41, v45
	v_mov_b32_e32 v44, v31
	v_mov_b32_e32 v45, v35
	v_fma_f32 v58, v46, v24, -v58
	v_pk_fma_f32 v[104:105], v[38:39], v[28:29], v[88:89] op_sel:[0,1,1] op_sel_hi:[1,1,0]
	v_pk_fma_f32 v[38:39], v[38:39], v[28:29], v[88:89] op_sel:[0,1,1] op_sel_hi:[1,1,0] neg_lo:[1,0,0] neg_hi:[1,0,0]
	v_pk_mul_f32 v[42:43], v[46:47], v[42:43]
	v_pk_fma_f32 v[46:47], v[50:51], v[48:49], v[94:95] op_sel:[0,0,1] op_sel_hi:[1,0,0] neg_lo:[1,0,0] neg_hi:[1,0,0]
	v_mov_b32_e32 v90, v30
	v_mov_b32_e32 v91, v34
	;; [unrolled: 1-line block ×4, first 2 shown]
	v_fma_f32 v56, v40, v30, -v56
	v_pk_mul_f32 v[40:41], v[40:41], v[44:45]
	v_mov_b32_e32 v84, v39
	v_mov_b32_e32 v86, v47
	v_pk_fma_f32 v[44:45], v[50:51], v[48:49], v[94:95] op_sel:[0,0,1] op_sel_hi:[1,0,0]
	v_pk_add_f32 v[50:51], v[56:57], v[58:59]
	v_mov_b32_e32 v105, v39
	v_pk_fma_f32 v[88:89], v[52:53], v[30:31], v[40:41]
	v_pk_fma_f32 v[40:41], v[52:53], v[90:91], v[40:41] neg_lo:[0,0,1] neg_hi:[0,0,1]
	v_pk_fma_f32 v[52:53], v[54:55], v[24:25], v[42:43]
	v_pk_fma_f32 v[42:43], v[54:55], v[92:93], v[42:43] neg_lo:[0,0,1] neg_hi:[0,0,1]
	v_mov_b32_e32 v39, v56
	v_pk_add_f32 v[56:57], v[84:85], v[86:87]
	v_mov_b32_e32 v45, v47
	v_mov_b32_e32 v47, v58
	;; [unrolled: 1-line block ×6, first 2 shown]
	v_pk_add_f32 v[54:55], v[104:105], v[44:45]
	v_pk_add_f32 v[44:45], v[104:105], v[44:45] neg_lo:[0,1] neg_hi:[0,1]
	v_pk_add_f32 v[58:59], v[88:89], v[52:53]
	v_pk_add_f32 v[38:39], v[38:39], v[46:47] neg_lo:[0,1] neg_hi:[0,1]
	v_mov_b32_e32 v40, v43
	v_mov_b32_e32 v42, v41
	v_pk_add_f32 v[52:53], v[88:89], v[52:53] neg_lo:[0,1] neg_hi:[0,1]
	v_mov_b32_e32 v87, v45
	v_mov_b32_e32 v43, v54
	;; [unrolled: 1-line block ×4, first 2 shown]
	v_pk_add_f32 v[88:89], v[50:51], v[56:57]
	v_pk_add_f32 v[40:41], v[40:41], v[42:43]
	v_pk_add_f32 v[86:87], v[86:87], v[52:53] neg_lo:[0,1] neg_hi:[0,1]
	v_mov_b32_e32 v90, v40
	v_pk_mul_f32 v[86:87], v[86:87], s[18:19]
	v_mov_b32_e32 v91, v54
	v_mov_b32_e32 v51, v89
	s_mov_b32 s18, 0x3d64c772
	v_mov_b32_e32 v84, v44
	v_mov_b32_e32 v85, v53
	v_pk_add_f32 v[90:91], v[90:91], v[50:51] neg_lo:[0,1] neg_hi:[0,1]
	v_mov_b32_e32 v57, v89
	v_mov_b32_e32 v92, v40
	;; [unrolled: 1-line block ×3, first 2 shown]
	v_pk_add_f32 v[40:41], v[88:89], v[40:41]
	s_mov_b32 s19, 0x3f4a47b2
	v_pk_add_f32 v[46:47], v[84:85], v[38:39] neg_lo:[0,1] neg_hi:[0,1]
	v_pk_add_f32 v[84:85], v[52:53], v[38:39]
	v_pk_add_f32 v[92:93], v[56:57], v[92:93] neg_lo:[0,1] neg_hi:[0,1]
	v_pk_add_f32 v[36:37], v[36:37], v[40:41]
	v_pk_mul_f32 v[88:89], v[90:91], s[18:19]
	s_mov_b32 s22, s19
	s_mov_b32 s23, s18
	v_pk_mul_f32 v[42:43], v[46:47], s[6:7]
	v_pk_add_f32 v[84:85], v[84:85], v[44:45]
	v_pk_mul_f32 v[90:91], v[92:93], s[22:23]
	v_pk_fma_f32 v[40:41], v[40:41], s[20:21], v[36:37] op_sel_hi:[1,0,1] neg_lo:[1,0,0] neg_hi:[1,0,0]
	v_pk_fma_f32 v[92:93], v[92:93], s[22:23], v[88:89]
	v_pk_fma_f32 v[46:47], v[46:47], s[6:7], v[86:87]
	v_pk_add_f32 v[92:93], v[92:93], v[40:41]
	v_pk_fma_f32 v[46:47], v[84:85], s[16:17], v[46:47] op_sel_hi:[1,0,1]
	v_mov_b32_e32 v53, v39
	v_pk_add_f32 v[94:95], v[92:93], v[46:47]
	v_pk_add_f32 v[46:47], v[92:93], v[46:47] neg_lo:[0,1] neg_hi:[0,1]
	v_mov_b32_e32 v92, v94
	v_mov_b32_e32 v93, v47
	;; [unrolled: 1-line block ×4, first 2 shown]
	ds_write2_b64 v100, v[36:37], v[92:93] offset1:27
	v_pk_add_f32 v[36:37], v[52:53], v[44:45] neg_lo:[0,1] neg_hi:[0,1]
	s_mov_b32 s22, 0x3f5ff5aa
	v_pk_add_f32 v[38:39], v[50:51], v[56:57] neg_lo:[0,1] neg_hi:[0,1]
	v_mov_b32_e32 v44, v90
	v_mov_b32_e32 v45, v89
	;; [unrolled: 1-line block ×6, first 2 shown]
	v_pk_fma_f32 v[44:45], v[38:39], s[24:25], v[44:45] op_sel_hi:[1,0,1] neg_lo:[1,0,1] neg_hi:[1,0,1]
	v_pk_fma_f32 v[50:51], v[36:37], s[22:23], v[50:51] op_sel_hi:[1,0,1] neg_lo:[1,0,1] neg_hi:[1,0,1]
	;; [unrolled: 1-line block ×4, first 2 shown]
	v_pk_add_f32 v[44:45], v[44:45], v[40:41]
	v_pk_fma_f32 v[50:51], v[84:85], s[16:17], v[50:51] op_sel_hi:[1,0,1]
	v_pk_add_f32 v[38:39], v[38:39], v[40:41]
	v_pk_fma_f32 v[36:37], v[84:85], s[16:17], v[36:37] op_sel_hi:[1,0,1]
	v_pk_add_f32 v[52:53], v[44:45], v[50:51]
	v_pk_add_f32 v[44:45], v[44:45], v[50:51] neg_lo:[0,1] neg_hi:[0,1]
	v_pk_add_f32 v[40:41], v[38:39], v[36:37] neg_lo:[0,1] neg_hi:[0,1]
	v_pk_add_f32 v[36:37], v[38:39], v[36:37]
	v_mov_b32_e32 v50, v52
	v_mov_b32_e32 v51, v45
	v_mov_b32_e32 v38, v40
	v_mov_b32_e32 v39, v37
	ds_write2_b64 v100, v[50:51], v[38:39] offset0:54 offset1:81
	v_mov_b32_e32 v37, v41
	v_mov_b32_e32 v45, v53
	;; [unrolled: 1-line block ×3, first 2 shown]
	v_mad_u64_u32 v[50:51], s[0:1], v64, 48, s[0:1]
	ds_write2_b64 v100, v[36:37], v[44:45] offset0:108 offset1:135
	ds_write_b64 v100, v[46:47] offset:1296
	s_waitcnt lgkmcnt(0)
	s_barrier
	global_load_dwordx4 v[44:47], v[50:51], off offset:1504
	global_load_dwordx4 v[40:43], v[50:51], off offset:1488
	;; [unrolled: 1-line block ×3, first 2 shown]
	ds_read2_b64 v[50:53], v103 offset0:58 offset1:247
	v_lshlrev_b32_e32 v48, 3, v64
	v_lshl_add_u64 v[58:59], s[14:15], 0, v[48:49]
	ds_read2_b64 v[54:57], v60 offset1:189
	ds_read2_b64 v[84:87], v110 offset0:52 offset1:241
	ds_read_b64 v[48:49], v60 offset:9072
	s_mov_b32 s0, s19
	s_waitcnt vmcnt(2) lgkmcnt(3)
	v_pk_mul_f32 v[88:89], v[52:53], v[44:45] op_sel:[0,1]
	v_mov_b32_e32 v90, v47
	s_waitcnt vmcnt(1) lgkmcnt(2)
	v_pk_mul_f32 v[92:93], v[56:57], v[40:41] op_sel:[0,1]
	v_pk_fma_f32 v[94:95], v[52:53], v[44:45], v[88:89] op_sel:[0,0,1] op_sel_hi:[1,1,0] neg_lo:[0,0,1] neg_hi:[0,0,1]
	v_pk_fma_f32 v[52:53], v[52:53], v[44:45], v[88:89] op_sel:[0,0,1] op_sel_hi:[1,0,0]
	s_waitcnt lgkmcnt(1)
	v_pk_mul_f32 v[88:89], v[84:85], v[90:91] op_sel_hi:[1,0]
	v_pk_fma_f32 v[90:91], v[56:57], v[40:41], v[92:93] op_sel:[0,0,1] op_sel_hi:[1,1,0] neg_lo:[0,0,1] neg_hi:[0,0,1]
	v_pk_fma_f32 v[56:57], v[56:57], v[40:41], v[92:93] op_sel:[0,0,1] op_sel_hi:[1,0,0]
	v_mov_b32_e32 v95, v53
	v_mov_b32_e32 v56, v43
	v_pk_fma_f32 v[52:53], v[84:85], v[46:47], v[88:89] op_sel:[0,0,1] op_sel_hi:[1,1,0] neg_lo:[0,0,1] neg_hi:[0,0,1]
	v_pk_fma_f32 v[84:85], v[84:85], v[46:47], v[88:89] op_sel:[0,0,1] op_sel_hi:[1,0,0]
	v_mov_b32_e32 v91, v57
	v_pk_mul_f32 v[56:57], v[50:51], v[56:57] op_sel_hi:[1,0]
	v_mov_b32_e32 v53, v85
	v_pk_fma_f32 v[84:85], v[50:51], v[42:43], v[56:57] op_sel:[0,0,1] op_sel_hi:[1,1,0] neg_lo:[0,0,1] neg_hi:[0,0,1]
	v_pk_fma_f32 v[50:51], v[50:51], v[42:43], v[56:57] op_sel:[0,0,1] op_sel_hi:[1,0,0]
	s_nop 0
	v_mov_b32_e32 v85, v51
	s_waitcnt vmcnt(0)
	v_pk_mul_f32 v[50:51], v[86:87], v[36:37] op_sel:[0,1]
	s_nop 0
	v_pk_fma_f32 v[56:57], v[86:87], v[36:37], v[50:51] op_sel:[0,0,1] op_sel_hi:[1,1,0] neg_lo:[0,0,1] neg_hi:[0,0,1]
	v_pk_fma_f32 v[50:51], v[86:87], v[36:37], v[50:51] op_sel:[0,0,1] op_sel_hi:[1,0,0]
	s_nop 0
	v_mov_b32_e32 v50, v39
	v_mov_b32_e32 v57, v51
	s_waitcnt lgkmcnt(0)
	v_pk_mul_f32 v[50:51], v[48:49], v[50:51] op_sel_hi:[1,0]
	s_nop 0
	v_pk_fma_f32 v[86:87], v[48:49], v[38:39], v[50:51] op_sel:[0,0,1] op_sel_hi:[1,1,0] neg_lo:[0,0,1] neg_hi:[0,0,1]
	v_pk_fma_f32 v[48:49], v[48:49], v[38:39], v[50:51] op_sel:[0,0,1] op_sel_hi:[1,0,0]
	s_nop 0
	v_mov_b32_e32 v87, v49
	v_pk_add_f32 v[48:49], v[90:91], v[86:87]
	v_pk_add_f32 v[50:51], v[90:91], v[86:87] neg_lo:[0,1] neg_hi:[0,1]
	v_pk_add_f32 v[86:87], v[84:85], v[56:57]
	v_pk_add_f32 v[56:57], v[84:85], v[56:57] neg_lo:[0,1] neg_hi:[0,1]
	v_pk_add_f32 v[84:85], v[94:95], v[52:53]
	v_pk_add_f32 v[88:89], v[86:87], v[48:49]
	v_pk_add_f32 v[52:53], v[52:53], v[94:95] neg_lo:[0,1] neg_hi:[0,1]
	v_pk_add_f32 v[90:91], v[86:87], v[48:49] neg_lo:[0,1] neg_hi:[0,1]
	;; [unrolled: 1-line block ×3, first 2 shown]
	v_mov_b32_e32 v106, v88
	v_mov_b32_e32 v107, v85
	;; [unrolled: 1-line block ×3, first 2 shown]
	v_pk_add_f32 v[92:93], v[52:53], v[56:57] op_sel:[1,1] op_sel_hi:[0,0]
	v_pk_add_f32 v[94:95], v[50:51], v[52:53] op_sel:[1,1] op_sel_hi:[0,0] neg_lo:[0,1] neg_hi:[0,1]
	v_pk_add_f32 v[104:105], v[56:57], v[50:51] op_sel:[1,1] op_sel_hi:[0,0] neg_lo:[0,1] neg_hi:[0,1]
	v_pk_add_f32 v[88:89], v[106:107], v[88:89]
	v_pk_mul_f32 v[48:49], v[48:49], s[0:1] op_sel_hi:[1,0]
	v_pk_add_f32 v[52:53], v[52:53], v[56:57] op_sel:[1,1] op_sel_hi:[0,0] neg_lo:[0,1] neg_hi:[0,1]
	s_mov_b32 s0, s7
	v_pk_add_f32 v[50:51], v[92:93], v[50:51] op_sel:[0,1] op_sel_hi:[1,0]
	v_pk_add_f32 v[54:55], v[54:55], v[88:89]
	v_pk_mul_f32 v[92:93], v[94:95], s[6:7] op_sel_hi:[1,0]
	v_pk_mul_f32 v[106:107], v[104:105], s[22:23] op_sel_hi:[1,0]
	v_pk_add_f32 v[84:85], v[84:85], v[86:87] neg_lo:[0,1] neg_hi:[0,1]
	v_pk_mul_f32 v[86:87], v[52:53], s[0:1] op_sel_hi:[1,0]
	v_pk_fma_f32 v[88:89], v[88:89], s[20:21], v[54:55] op_sel_hi:[1,0,1] neg_lo:[1,0,0] neg_hi:[1,0,0]
	v_pk_fma_f32 v[108:109], v[90:91], s[24:25], v[48:49] op_sel_hi:[1,0,1] neg_lo:[1,0,1] neg_hi:[1,0,1]
	;; [unrolled: 1-line block ×3, first 2 shown]
	v_pk_mul_f32 v[56:57], v[84:85], s[18:19] op_sel_hi:[1,0]
	v_pk_fma_f32 v[48:49], v[84:85], s[18:19], v[48:49] op_sel_hi:[1,0,1]
	v_pk_fma_f32 v[52:53], v[52:53], s[0:1], v[92:93] op_sel_hi:[1,0,1]
	v_pk_fma_f32 v[84:85], v[104:105], s[22:23], v[86:87] op_sel_hi:[1,0,1] neg_lo:[0,0,1] neg_hi:[0,0,1]
	v_pk_fma_f32 v[94:95], v[50:51], s[16:17], v[94:95] op_sel_hi:[1,0,1]
	v_pk_fma_f32 v[56:57], v[90:91], s[24:25], v[56:57] op_sel_hi:[1,0,1] neg_lo:[0,0,1] neg_hi:[0,0,1]
	v_pk_fma_f32 v[84:85], v[50:51], s[16:17], v[84:85] op_sel_hi:[1,0,1]
	v_pk_add_f32 v[48:49], v[48:49], v[88:89]
	v_pk_fma_f32 v[50:51], v[50:51], s[16:17], v[52:53] op_sel_hi:[1,0,1]
	v_pk_add_f32 v[106:107], v[108:109], v[88:89]
	v_pk_add_f32 v[56:57], v[56:57], v[88:89]
	v_pk_add_f32 v[52:53], v[48:49], v[50:51] neg_lo:[0,1] neg_hi:[0,1]
	v_pk_add_f32 v[48:49], v[48:49], v[50:51]
	v_pk_add_f32 v[108:109], v[106:107], v[94:95]
	v_pk_add_f32 v[94:95], v[106:107], v[94:95] neg_lo:[0,1] neg_hi:[0,1]
	v_pk_add_f32 v[86:87], v[56:57], v[84:85] neg_lo:[0,1] neg_hi:[0,1]
	v_pk_add_f32 v[56:57], v[56:57], v[84:85]
	v_mov_b32_e32 v85, v49
	v_mov_b32_e32 v49, v53
	ds_write2_b64 v60, v[54:55], v[48:49] offset1:189
	v_mov_b32_e32 v48, v108
	v_mov_b32_e32 v49, v95
	;; [unrolled: 1-line block ×4, first 2 shown]
	s_movk_i32 s0, 0x2000
	ds_write2_b64 v103, v[48:49], v[50:51] offset0:58 offset1:247
	v_add_co_u32_e32 v48, vcc, s0, v58
	v_mov_b32_e32 v57, v87
	v_mov_b32_e32 v95, v109
	v_addc_co_u32_e32 v49, vcc, 0, v59, vcc
	v_mov_b32_e32 v84, v52
	ds_write2_b64 v110, v[56:57], v[94:95] offset0:52 offset1:241
	ds_write_b64 v60, v[84:85] offset:9072
	s_waitcnt lgkmcnt(0)
	s_barrier
	global_load_dwordx2 v[50:51], v[48:49], off offset:2392
	s_mov_b64 s[0:1], 0x2958
	v_lshl_add_u64 v[48:49], v[58:59], 0, s[0:1]
	s_movk_i32 s0, 0x4000
	v_add_co_u32_e32 v52, vcc, s0, v58
	s_movk_i32 s0, 0x3000
	s_nop 0
	v_addc_co_u32_e32 v53, vcc, 0, v59, vcc
	global_load_dwordx2 v[94:95], v[52:53], off offset:1256
	global_load_dwordx2 v[104:105], v[48:49], off offset:3528
	;; [unrolled: 1-line block ×3, first 2 shown]
	v_add_co_u32_e32 v54, vcc, s0, v58
	s_nop 1
	v_addc_co_u32_e32 v55, vcc, 0, v59, vcc
	global_load_dwordx2 v[58:59], v[54:55], off offset:3336
	global_load_dwordx2 v[108:109], v[52:53], off offset:2768
	ds_read2_b64 v[52:55], v60 offset1:189
	s_waitcnt vmcnt(5) lgkmcnt(0)
	v_mul_f32_e32 v56, v53, v51
	v_mul_f32_e32 v57, v52, v51
	v_fma_f32 v56, v52, v50, -v56
	v_fmac_f32_e32 v57, v53, v50
	ds_write_b64 v60, v[56:57]
	v_add_u32_e32 v52, 0xc00, v60
	ds_read2_b64 v[86:89], v52 offset0:57 offset1:246
	v_add_u32_e32 v56, 0x1a00, v60
	ds_read2_b64 v[90:93], v56 offset0:50 offset1:239
	s_waitcnt vmcnt(3) lgkmcnt(1)
	v_mul_f32_e32 v51, v86, v105
	v_mul_f32_e32 v50, v87, v105
	v_fmac_f32_e32 v51, v87, v104
	s_waitcnt lgkmcnt(0)
	v_mul_f32_e32 v53, v91, v95
	v_mul_f32_e32 v87, v90, v95
	v_fma_f32 v50, v86, v104, -v50
	v_fma_f32 v86, v90, v94, -v53
	v_fmac_f32_e32 v87, v91, v94
	s_waitcnt vmcnt(2)
	v_mul_f32_e32 v53, v55, v107
	v_mul_f32_e32 v91, v54, v107
	v_fma_f32 v90, v54, v106, -v53
	v_fmac_f32_e32 v91, v55, v106
	v_add_u32_e32 v53, 0x5e0, v60
	ds_write2_b64 v53, v[90:91], v[50:51] offset0:1 offset1:253
	s_waitcnt vmcnt(1)
	v_mul_f32_e32 v50, v89, v59
	v_mul_f32_e32 v51, v88, v59
	v_fma_f32 v50, v88, v58, -v50
	v_fmac_f32_e32 v51, v89, v58
	v_add_u32_e32 v53, 0x13a0, v60
	ds_write2_b64 v53, v[50:51], v[86:87] offset0:2 offset1:254
	s_waitcnt vmcnt(0)
	v_mul_f32_e32 v50, v93, v109
	v_mul_f32_e32 v51, v92, v109
	v_fma_f32 v50, v92, v108, -v50
	v_fmac_f32_e32 v51, v93, v108
	ds_write_b64 v60, v[50:51] offset:8568
	s_and_saveexec_b64 s[0:1], s[4:5]
	s_cbranch_execz .LBB0_17
; %bb.16:
	v_add_co_u32_e32 v54, vcc, 0x1000, v48
	global_load_dwordx2 v[50:51], v[48:49], off offset:3024
	s_nop 0
	v_addc_co_u32_e32 v55, vcc, 0, v49, vcc
	v_add_co_u32_e32 v48, vcc, 0x2000, v48
	global_load_dwordx2 v[54:55], v[54:55], off offset:2456
	s_nop 0
	v_addc_co_u32_e32 v49, vcc, 0, v49, vcc
	global_load_dwordx2 v[48:49], v[48:49], off offset:1888
	ds_read_b64 v[58:59], v60 offset:3024
	ds_read_b64 v[86:87], v60 offset:6552
	;; [unrolled: 1-line block ×3, first 2 shown]
	s_waitcnt vmcnt(2) lgkmcnt(2)
	v_mul_f32_e32 v53, v59, v51
	v_mul_f32_e32 v91, v58, v51
	v_fma_f32 v90, v58, v50, -v53
	v_fmac_f32_e32 v91, v59, v50
	ds_write_b64 v60, v[90:91] offset:3024
	s_waitcnt vmcnt(1) lgkmcnt(2)
	v_mul_f32_e32 v50, v87, v55
	v_mul_f32_e32 v51, v86, v55
	v_fma_f32 v50, v86, v54, -v50
	s_waitcnt vmcnt(0) lgkmcnt(1)
	v_mul_f32_e32 v53, v89, v49
	v_mul_f32_e32 v55, v88, v49
	v_fmac_f32_e32 v51, v87, v54
	v_fma_f32 v54, v88, v48, -v53
	v_fmac_f32_e32 v55, v89, v48
	ds_write_b64 v60, v[50:51] offset:6552
	ds_write_b64 v60, v[54:55] offset:10080
.LBB0_17:
	s_or_b64 exec, exec, s[0:1]
	s_waitcnt lgkmcnt(0)
	s_barrier
	ds_read2_b64 v[48:51], v60 offset1:189
	ds_read2_b64 v[52:55], v52 offset0:57 offset1:246
	ds_read2_b64 v[56:59], v56 offset0:50 offset1:239
	s_and_saveexec_b64 s[0:1], s[4:5]
	s_cbranch_execz .LBB0_19
; %bb.18:
	ds_read_b64 v[84:85], v60 offset:3024
	ds_read_b64 v[82:83], v60 offset:6552
	ds_read_b64 v[80:81], v60 offset:10080
.LBB0_19:
	s_or_b64 exec, exec, s[0:1]
	s_waitcnt lgkmcnt(0)
	v_pk_add_f32 v[92:93], v[82:83], v[80:81]
	v_pk_add_f32 v[88:89], v[48:49], v[52:53]
	;; [unrolled: 1-line block ×3, first 2 shown]
	v_pk_fma_f32 v[84:85], v[92:93], 0.5, v[84:85] op_sel_hi:[1,0,1] neg_lo:[1,0,0] neg_hi:[1,0,0]
	v_pk_add_f32 v[82:83], v[82:83], v[80:81] neg_lo:[0,1] neg_hi:[0,1]
	s_mov_b32 s0, 0x3f5db3d7
	v_pk_add_f32 v[86:87], v[86:87], v[80:81]
	v_pk_fma_f32 v[80:81], v[82:83], s[0:1], v[84:85] op_sel:[0,0,1] op_sel_hi:[1,0,0]
	v_pk_fma_f32 v[82:83], v[82:83], s[0:1], v[84:85] op_sel:[0,0,1] op_sel_hi:[1,0,0] neg_lo:[1,0,0] neg_hi:[1,0,0]
	v_pk_add_f32 v[84:85], v[88:89], v[56:57]
	v_pk_add_f32 v[88:89], v[52:53], v[56:57]
	v_pk_add_f32 v[52:53], v[52:53], v[56:57] neg_lo:[0,1] neg_hi:[0,1]
	v_pk_fma_f32 v[48:49], v[88:89], 0.5, v[48:49] op_sel_hi:[1,0,1] neg_lo:[1,0,0] neg_hi:[1,0,0]
	v_pk_mul_f32 v[52:53], v[52:53], s[0:1] op_sel_hi:[1,0]
	s_nop 0
	v_pk_add_f32 v[56:57], v[48:49], v[52:53] op_sel:[0,1] op_sel_hi:[1,0] neg_lo:[0,1] neg_hi:[0,1]
	v_pk_add_f32 v[48:49], v[48:49], v[52:53] op_sel:[0,1] op_sel_hi:[1,0]
	v_mov_b32_e32 v52, v56
	v_mov_b32_e32 v53, v49
	s_barrier
	ds_write2_b64 v61, v[84:85], v[52:53] offset1:1
	v_pk_add_f32 v[52:53], v[54:55], v[58:59]
	v_pk_add_f32 v[90:91], v[50:51], v[54:55]
	v_pk_fma_f32 v[50:51], v[52:53], 0.5, v[50:51] op_sel_hi:[1,0,1] neg_lo:[1,0,0] neg_hi:[1,0,0]
	v_pk_add_f32 v[52:53], v[54:55], v[58:59] neg_lo:[0,1] neg_hi:[0,1]
	v_mov_b32_e32 v49, v57
	v_pk_mul_f32 v[52:53], v[52:53], s[0:1] op_sel_hi:[1,0]
	ds_write_b64 v61, v[48:49] offset:16
	v_pk_add_f32 v[54:55], v[50:51], v[52:53] op_sel:[0,1] op_sel_hi:[1,0] neg_lo:[0,1] neg_hi:[0,1]
	v_pk_add_f32 v[50:51], v[50:51], v[52:53] op_sel:[0,1] op_sel_hi:[1,0]
	v_pk_add_f32 v[48:49], v[90:91], v[58:59]
	v_mov_b32_e32 v52, v54
	v_mov_b32_e32 v53, v51
	v_mov_b32_e32 v51, v55
	ds_write2_b64 v65, v[48:49], v[52:53] offset1:1
	ds_write_b64 v65, v[50:51] offset:16
	s_and_saveexec_b64 s[0:1], s[4:5]
	s_cbranch_execz .LBB0_21
; %bb.20:
	v_lshlrev_b32_e32 v50, 3, v67
	v_mov_b32_e32 v48, v83
	v_mov_b32_e32 v49, v80
	ds_write2_b64 v50, v[86:87], v[48:49] offset1:1
	v_mov_b32_e32 v48, v81
	v_mov_b32_e32 v49, v82
	ds_write_b64 v50, v[48:49] offset:16
.LBB0_21:
	s_or_b64 exec, exec, s[0:1]
	v_add_u32_e32 v52, 0xc00, v60
	s_waitcnt lgkmcnt(0)
	s_barrier
	ds_read2_b64 v[56:59], v52 offset0:57 offset1:246
	v_add_u32_e32 v52, 0x1a00, v60
	ds_read2_b64 v[48:51], v60 offset1:189
	ds_read2_b64 v[52:55], v52 offset0:50 offset1:239
	s_and_saveexec_b64 s[0:1], s[2:3]
	s_xor_b64 s[0:1], exec, s[0:1]
	s_or_saveexec_b64 s[0:1], s[0:1]
	v_mov_b32_e32 v94, v8
	v_mov_b32_e32 v95, v8
	v_mov_b32_e32 v8, v9
	v_mov_b32_e32 v92, v10
	v_mov_b32_e32 v93, v10
	v_mov_b32_e32 v10, v11
	v_mov_b32_e32 v90, v12
	v_mov_b32_e32 v91, v12
	v_mov_b32_e32 v12, v13
	v_mov_b32_e32 v88, v14
	v_mov_b32_e32 v89, v14
	v_mov_b32_e32 v14, v15
	s_xor_b64 exec, exec, s[0:1]
	s_cbranch_execz .LBB0_23
; %bb.22:
	ds_read_b64 v[84:85], v60 offset:6552
	ds_read_b64 v[82:83], v60 offset:10080
	;; [unrolled: 1-line block ×3, first 2 shown]
	s_waitcnt lgkmcnt(2)
	v_mov_b32_e32 v80, v85
	s_waitcnt lgkmcnt(1)
	v_mov_b32_e32 v81, v82
	v_mov_b32_e32 v82, v83
	;; [unrolled: 1-line block ×3, first 2 shown]
.LBB0_23:
	s_or_b64 exec, exec, s[0:1]
	v_pk_mul_f32 v[84:85], v[0:1], v[80:81] op_sel_hi:[1,0]
	v_pk_mul_f32 v[104:105], v[2:3], v[82:83] op_sel_hi:[1,0]
	v_pk_fma_f32 v[106:107], v[0:1], v[82:83], v[84:85] op_sel:[0,1,1] op_sel_hi:[1,1,0]
	v_pk_fma_f32 v[0:1], v[0:1], v[82:83], v[84:85] op_sel:[0,1,1] op_sel_hi:[1,1,0] neg_lo:[1,0,0] neg_hi:[1,0,0]
	s_mov_b32 s0, 0x3f5db3d7
	v_mov_b32_e32 v107, v1
	v_pk_fma_f32 v[0:1], v[2:3], v[80:81], v[104:105] op_sel:[0,1,1] op_sel_hi:[1,1,0]
	v_pk_fma_f32 v[2:3], v[2:3], v[80:81], v[104:105] op_sel:[0,1,1] op_sel_hi:[1,1,0] neg_lo:[1,0,0] neg_hi:[1,0,0]
	s_waitcnt lgkmcnt(2)
	v_pk_mul_f32 v[8:9], v[8:9], v[56:57]
	v_mov_b32_e32 v1, v3
	s_waitcnt lgkmcnt(0)
	v_pk_add_f32 v[2:3], v[86:87], v[106:107]
	v_pk_mul_f32 v[10:11], v[10:11], v[52:53]
	v_pk_add_f32 v[80:81], v[2:3], v[0:1]
	v_pk_add_f32 v[2:3], v[106:107], v[0:1]
	v_pk_add_f32 v[0:1], v[106:107], v[0:1] neg_lo:[0,1] neg_hi:[0,1]
	v_pk_fma_f32 v[2:3], v[2:3], 0.5, v[86:87] op_sel_hi:[1,0,1] neg_lo:[1,0,0] neg_hi:[1,0,0]
	v_pk_mul_f32 v[0:1], v[0:1], s[0:1] op_sel_hi:[1,0]
	v_pk_mul_f32 v[12:13], v[12:13], v[58:59]
	v_pk_add_f32 v[82:83], v[0:1], v[2:3] op_sel:[1,0] op_sel_hi:[0,1]
	v_pk_add_f32 v[84:85], v[2:3], v[0:1] op_sel:[0,1] op_sel_hi:[1,0] neg_lo:[0,1] neg_hi:[0,1]
	v_pk_fma_f32 v[0:1], v[94:95], v[56:57], v[8:9] op_sel:[0,0,1] op_sel_hi:[1,1,0]
	v_pk_fma_f32 v[2:3], v[94:95], v[56:57], v[8:9] op_sel:[0,0,1] op_sel_hi:[1,1,0] neg_lo:[0,0,1] neg_hi:[0,0,1]
	v_pk_fma_f32 v[8:9], v[92:93], v[52:53], v[10:11] op_sel:[0,0,1] op_sel_hi:[1,1,0] neg_lo:[0,0,1] neg_hi:[0,0,1]
	v_mov_b32_e32 v1, v3
	v_pk_fma_f32 v[2:3], v[92:93], v[52:53], v[10:11] op_sel:[0,0,1] op_sel_hi:[1,1,0]
	v_pk_mul_f32 v[14:15], v[14:15], v[54:55]
	v_mov_b32_e32 v3, v9
	v_pk_add_f32 v[8:9], v[48:49], v[0:1]
	v_pk_add_f32 v[10:11], v[0:1], v[2:3]
	v_pk_add_f32 v[0:1], v[0:1], v[2:3] neg_lo:[0,1] neg_hi:[0,1]
	v_pk_fma_f32 v[10:11], v[10:11], 0.5, v[48:49] op_sel_hi:[1,0,1] neg_lo:[1,0,0] neg_hi:[1,0,0]
	v_pk_mul_f32 v[0:1], v[0:1], s[0:1] op_sel_hi:[1,0]
	v_pk_add_f32 v[8:9], v[8:9], v[2:3]
	v_pk_add_f32 v[2:3], v[10:11], v[0:1] op_sel:[0,1] op_sel_hi:[1,0] neg_lo:[0,1] neg_hi:[0,1]
	v_pk_add_f32 v[0:1], v[10:11], v[0:1] op_sel:[0,1] op_sel_hi:[1,0]
	s_nop 0
	v_mov_b32_e32 v11, v1
	v_mov_b32_e32 v1, v3
	s_barrier
	v_mov_b32_e32 v10, v2
	ds_write_b64 v97, v[0:1] offset:48
	v_pk_fma_f32 v[0:1], v[90:91], v[58:59], v[12:13] op_sel:[0,0,1] op_sel_hi:[1,1,0]
	v_pk_fma_f32 v[2:3], v[90:91], v[58:59], v[12:13] op_sel:[0,0,1] op_sel_hi:[1,1,0] neg_lo:[0,0,1] neg_hi:[0,0,1]
	ds_write2_b64 v97, v[8:9], v[10:11] offset1:3
	v_mov_b32_e32 v1, v3
	v_pk_fma_f32 v[2:3], v[88:89], v[54:55], v[14:15] op_sel:[0,0,1] op_sel_hi:[1,1,0]
	v_pk_fma_f32 v[8:9], v[88:89], v[54:55], v[14:15] op_sel:[0,0,1] op_sel_hi:[1,1,0] neg_lo:[0,0,1] neg_hi:[0,0,1]
	s_nop 0
	v_mov_b32_e32 v3, v9
	v_pk_add_f32 v[8:9], v[0:1], v[2:3]
	v_pk_add_f32 v[10:11], v[0:1], v[2:3] neg_lo:[0,1] neg_hi:[0,1]
	v_pk_fma_f32 v[8:9], v[8:9], 0.5, v[50:51] op_sel_hi:[1,0,1] neg_lo:[1,0,0] neg_hi:[1,0,0]
	v_pk_mul_f32 v[10:11], v[10:11], s[0:1] op_sel_hi:[1,0]
	v_pk_add_f32 v[0:1], v[50:51], v[0:1]
	v_pk_add_f32 v[12:13], v[8:9], v[10:11] op_sel:[0,1] op_sel_hi:[1,0]
	v_pk_add_f32 v[8:9], v[8:9], v[10:11] op_sel:[0,1] op_sel_hi:[1,0] neg_lo:[0,1] neg_hi:[0,1]
	v_pk_add_f32 v[0:1], v[0:1], v[2:3]
	v_mov_b32_e32 v2, v8
	v_mov_b32_e32 v3, v13
	;; [unrolled: 1-line block ×3, first 2 shown]
	ds_write2_b64 v96, v[0:1], v[2:3] offset1:3
	ds_write_b64 v96, v[12:13] offset:48
	s_and_saveexec_b64 s[0:1], s[4:5]
	s_cbranch_execz .LBB0_25
; %bb.24:
	v_lshlrev_b32_e32 v2, 3, v98
	v_mov_b32_e32 v0, v84
	v_mov_b32_e32 v1, v83
	ds_write2_b64 v2, v[80:81], v[0:1] offset1:3
	v_mov_b32_e32 v0, v82
	v_mov_b32_e32 v1, v85
	ds_write_b64 v2, v[0:1] offset:48
.LBB0_25:
	s_or_b64 exec, exec, s[0:1]
	v_add_u32_e32 v8, 0xc00, v60
	s_waitcnt lgkmcnt(0)
	s_barrier
	ds_read2_b64 v[12:15], v8 offset0:57 offset1:246
	v_add_u32_e32 v8, 0x1a00, v60
	ds_read2_b64 v[0:3], v60 offset1:189
	ds_read2_b64 v[8:11], v8 offset0:50 offset1:239
	s_and_saveexec_b64 s[0:1], s[2:3]
	s_xor_b64 s[0:1], exec, s[0:1]
	s_or_saveexec_b64 s[0:1], s[0:1]
	v_mov_b32_e32 v54, v20
	v_mov_b32_e32 v55, v20
	;; [unrolled: 1-line block ×12, first 2 shown]
	s_xor_b64 exec, exec, s[0:1]
	s_cbranch_execz .LBB0_27
; %bb.26:
	ds_read_b64 v[56:57], v60 offset:10080
	ds_read_b64 v[84:85], v60 offset:6552
	;; [unrolled: 1-line block ×3, first 2 shown]
	s_waitcnt lgkmcnt(2)
	v_mov_b32_e32 v82, v56
	s_waitcnt lgkmcnt(1)
	v_mov_b32_e32 v83, v85
	v_mov_b32_e32 v85, v57
.LBB0_27:
	s_or_b64 exec, exec, s[0:1]
	s_waitcnt lgkmcnt(2)
	v_pk_mul_f32 v[20:21], v[20:21], v[12:13]
	s_waitcnt lgkmcnt(0)
	v_pk_mul_f32 v[22:23], v[22:23], v[8:9]
	v_pk_fma_f32 v[56:57], v[54:55], v[12:13], v[20:21] op_sel:[0,0,1] op_sel_hi:[1,1,0]
	v_pk_fma_f32 v[12:13], v[54:55], v[12:13], v[20:21] op_sel:[0,0,1] op_sel_hi:[1,1,0] neg_lo:[0,0,1] neg_hi:[0,0,1]
	s_mov_b32 s0, 0x3f5db3d7
	v_mov_b32_e32 v57, v13
	v_pk_fma_f32 v[12:13], v[52:53], v[8:9], v[22:23] op_sel:[0,0,1] op_sel_hi:[1,1,0]
	v_pk_fma_f32 v[8:9], v[52:53], v[8:9], v[22:23] op_sel:[0,0,1] op_sel_hi:[1,1,0] neg_lo:[0,0,1] neg_hi:[0,0,1]
	v_pk_mul_f32 v[16:17], v[16:17], v[14:15]
	v_mov_b32_e32 v13, v9
	v_pk_add_f32 v[8:9], v[0:1], v[56:57]
	v_pk_add_f32 v[20:21], v[56:57], v[12:13]
	v_pk_add_f32 v[8:9], v[8:9], v[12:13]
	v_pk_add_f32 v[12:13], v[56:57], v[12:13] neg_lo:[0,1] neg_hi:[0,1]
	v_pk_fma_f32 v[0:1], v[20:21], 0.5, v[0:1] op_sel_hi:[1,0,1] neg_lo:[1,0,0] neg_hi:[1,0,0]
	v_pk_mul_f32 v[12:13], v[12:13], s[0:1] op_sel_hi:[1,0]
	v_pk_mul_f32 v[18:19], v[18:19], v[10:11]
	v_pk_add_f32 v[20:21], v[0:1], v[12:13] op_sel:[0,1] op_sel_hi:[1,0] neg_lo:[0,1] neg_hi:[0,1]
	v_pk_add_f32 v[0:1], v[0:1], v[12:13] op_sel:[0,1] op_sel_hi:[1,0]
	v_mov_b32_e32 v12, v20
	v_mov_b32_e32 v13, v1
	;; [unrolled: 1-line block ×3, first 2 shown]
	s_barrier
	ds_write2_b64 v101, v[8:9], v[12:13] offset1:9
	ds_write_b64 v101, v[0:1] offset:144
	v_pk_fma_f32 v[0:1], v[50:51], v[14:15], v[16:17] op_sel:[0,0,1] op_sel_hi:[1,1,0]
	v_pk_fma_f32 v[8:9], v[50:51], v[14:15], v[16:17] op_sel:[0,0,1] op_sel_hi:[1,1,0] neg_lo:[0,0,1] neg_hi:[0,0,1]
	s_nop 0
	v_mov_b32_e32 v1, v9
	v_pk_fma_f32 v[8:9], v[48:49], v[10:11], v[18:19] op_sel:[0,0,1] op_sel_hi:[1,1,0]
	v_pk_fma_f32 v[10:11], v[48:49], v[10:11], v[18:19] op_sel:[0,0,1] op_sel_hi:[1,1,0] neg_lo:[0,0,1] neg_hi:[0,0,1]
	s_nop 0
	v_mov_b32_e32 v9, v11
	v_pk_add_f32 v[10:11], v[0:1], v[8:9]
	v_pk_add_f32 v[12:13], v[0:1], v[8:9] neg_lo:[0,1] neg_hi:[0,1]
	v_pk_fma_f32 v[10:11], v[10:11], 0.5, v[2:3] op_sel_hi:[1,0,1] neg_lo:[1,0,0] neg_hi:[1,0,0]
	v_pk_mul_f32 v[12:13], v[12:13], s[0:1] op_sel_hi:[1,0]
	v_pk_add_f32 v[0:1], v[2:3], v[0:1]
	v_pk_add_f32 v[14:15], v[10:11], v[12:13] op_sel:[0,1] op_sel_hi:[1,0]
	v_pk_add_f32 v[10:11], v[10:11], v[12:13] op_sel:[0,1] op_sel_hi:[1,0] neg_lo:[0,1] neg_hi:[0,1]
	v_pk_add_f32 v[0:1], v[0:1], v[8:9]
	v_mov_b32_e32 v2, v10
	v_mov_b32_e32 v3, v15
	;; [unrolled: 1-line block ×3, first 2 shown]
	ds_write2_b64 v99, v[0:1], v[2:3] offset1:9
	ds_write_b64 v99, v[14:15] offset:144
	s_and_saveexec_b64 s[2:3], s[4:5]
	s_cbranch_execz .LBB0_29
; %bb.28:
	v_pk_mul_f32 v[0:1], v[4:5], v[82:83] op_sel:[0,1]
	v_pk_mul_f32 v[2:3], v[6:7], v[84:85] op_sel:[0,1]
	v_pk_fma_f32 v[8:9], v[4:5], v[84:85], v[0:1] op_sel:[0,0,1] op_sel_hi:[1,1,0]
	v_pk_fma_f32 v[0:1], v[4:5], v[84:85], v[0:1] op_sel:[0,0,1] op_sel_hi:[1,0,0] neg_lo:[1,0,0] neg_hi:[1,0,0]
	v_lshlrev_b32_e32 v10, 3, v102
	v_mov_b32_e32 v9, v1
	v_pk_fma_f32 v[0:1], v[6:7], v[82:83], v[2:3] op_sel:[0,0,1] op_sel_hi:[1,1,0]
	v_pk_fma_f32 v[2:3], v[6:7], v[82:83], v[2:3] op_sel:[0,0,1] op_sel_hi:[1,0,0] neg_lo:[1,0,0] neg_hi:[1,0,0]
	s_nop 0
	v_mov_b32_e32 v1, v3
	v_pk_add_f32 v[2:3], v[8:9], v[0:1]
	v_pk_add_f32 v[4:5], v[8:9], v[0:1] neg_lo:[0,1] neg_hi:[0,1]
	v_pk_fma_f32 v[2:3], -0.5, v[2:3], v[80:81] op_sel_hi:[0,1,1]
	v_pk_mul_f32 v[4:5], v[4:5], s[0:1] op_sel_hi:[1,0]
	s_nop 0
	v_pk_add_f32 v[6:7], v[2:3], v[4:5] op_sel:[0,1] op_sel_hi:[1,0]
	v_pk_add_f32 v[2:3], v[2:3], v[4:5] op_sel:[0,1] op_sel_hi:[1,0] neg_lo:[0,1] neg_hi:[0,1]
	v_pk_add_f32 v[4:5], v[80:81], v[8:9]
	s_nop 0
	v_pk_add_f32 v[0:1], v[4:5], v[0:1]
	v_mov_b32_e32 v4, v2
	v_mov_b32_e32 v5, v7
	;; [unrolled: 1-line block ×3, first 2 shown]
	ds_write2_b64 v10, v[0:1], v[4:5] offset1:9
	ds_write_b64 v10, v[6:7] offset:144
.LBB0_29:
	s_or_b64 exec, exec, s[2:3]
	v_add_u32_e32 v48, 0xa00, v60
	s_waitcnt lgkmcnt(0)
	s_barrier
	ds_read2_b64 v[2:5], v48 offset0:58 offset1:247
	ds_read2_b64 v[6:9], v60 offset1:189
	v_add_u32_e32 v49, 0x1600, v60
	ds_read2_b64 v[10:13], v49 offset0:52 offset1:241
	ds_read_b64 v[14:15], v60 offset:9072
	v_mov_b32_e32 v18, v33
	s_waitcnt lgkmcnt(3)
	v_pk_mul_f32 v[20:21], v[32:33], v[4:5] op_sel:[0,1] op_sel_hi:[1,0]
	v_pk_mul_f32 v[16:17], v[32:33], v[4:5]
	v_mov_b32_e32 v20, v21
	v_pk_mul_f32 v[18:19], v[18:19], v[4:5] op_sel:[0,1] op_sel_hi:[1,0]
	v_pk_fma_f32 v[4:5], v[32:33], v[4:5], v[20:21] op_sel:[0,1,0] op_sel_hi:[1,0,1] neg_lo:[0,0,1] neg_hi:[0,0,1]
	s_waitcnt lgkmcnt(1)
	v_pk_mul_f32 v[32:33], v[34:35], v[10:11] op_sel:[0,1] op_sel_hi:[1,0]
	v_mov_b32_e32 v22, v35
	v_mov_b32_e32 v32, v33
	v_pk_mul_f32 v[20:21], v[34:35], v[10:11]
	v_pk_mul_f32 v[22:23], v[22:23], v[10:11] op_sel:[0,1] op_sel_hi:[1,0]
	v_pk_fma_f32 v[10:11], v[34:35], v[10:11], v[32:33] op_sel:[0,1,0] op_sel_hi:[1,0,1] neg_lo:[0,0,1] neg_hi:[0,0,1]
	v_pk_mul_f32 v[34:35], v[28:29], v[8:9] op_sel_hi:[1,0]
	v_mov_b32_e32 v32, v9
	v_pk_fma_f32 v[8:9], v[28:29], v[8:9], v[34:35] op_sel:[0,1,1] op_sel_hi:[1,1,0]
	v_pk_fma_f32 v[32:33], v[28:29], v[32:33], v[34:35] op_sel:[0,0,1] op_sel_hi:[1,1,0] neg_lo:[0,0,1] neg_hi:[0,0,1]
	v_mov_b32_e32 v8, v3
	v_pk_mul_f32 v[28:29], v[30:31], v[2:3] op_sel_hi:[1,0]
	v_mov_b32_e32 v33, v9
	v_pk_fma_f32 v[8:9], v[30:31], v[8:9], v[28:29] op_sel:[0,0,1] op_sel_hi:[1,1,0] neg_lo:[0,0,1] neg_hi:[0,0,1]
	v_pk_fma_f32 v[2:3], v[30:31], v[2:3], v[28:29] op_sel:[0,1,1] op_sel_hi:[1,1,0]
	v_pk_mul_f32 v[28:29], v[24:25], v[12:13] op_sel_hi:[1,0]
	v_mov_b32_e32 v2, v13
	v_pk_fma_f32 v[12:13], v[24:25], v[12:13], v[28:29] op_sel:[0,1,1] op_sel_hi:[1,1,0]
	v_mov_b32_e32 v9, v3
	v_pk_fma_f32 v[2:3], v[24:25], v[2:3], v[28:29] op_sel:[0,0,1] op_sel_hi:[1,1,0] neg_lo:[0,0,1] neg_hi:[0,0,1]
	s_waitcnt lgkmcnt(0)
	v_mov_b32_e32 v12, v15
	v_pk_mul_f32 v[24:25], v[26:27], v[14:15] op_sel_hi:[1,0]
	v_mov_b32_e32 v3, v13
	v_pk_fma_f32 v[12:13], v[26:27], v[12:13], v[24:25] op_sel:[0,0,1] op_sel_hi:[1,1,0] neg_lo:[0,0,1] neg_hi:[0,0,1]
	v_pk_fma_f32 v[14:15], v[26:27], v[14:15], v[24:25] op_sel:[0,1,1] op_sel_hi:[1,1,0]
	v_mov_b32_e32 v21, v32
	v_mov_b32_e32 v13, v15
	;; [unrolled: 1-line block ×5, first 2 shown]
	v_pk_add_f32 v[14:15], v[32:33], v[12:13]
	v_pk_add_f32 v[24:25], v[32:33], v[12:13] neg_lo:[0,1] neg_hi:[0,1]
	v_pk_add_f32 v[26:27], v[8:9], v[2:3]
	v_pk_add_f32 v[28:29], v[8:9], v[2:3] neg_lo:[0,1] neg_hi:[0,1]
	v_pk_add_f32 v[12:13], v[20:21], v[22:23]
	v_pk_add_f32 v[2:3], v[16:17], v[18:19]
	v_mov_b32_e32 v11, v12
	v_mov_b32_e32 v5, v2
	v_pk_add_f32 v[8:9], v[10:11], v[4:5] neg_lo:[0,1] neg_hi:[0,1]
	v_mov_b32_e32 v22, v27
	v_mov_b32_e32 v23, v4
	;; [unrolled: 1-line block ×4, first 2 shown]
	v_pk_add_f32 v[4:5], v[22:23], v[4:5]
	v_pk_add_f32 v[10:11], v[2:3], v[12:13]
	v_mov_b32_e32 v0, s12
	v_mov_b32_e32 v1, s13
	;; [unrolled: 1-line block ×6, first 2 shown]
	s_mov_b32 s12, 0x3f08b237
	v_mov_b32_e32 v12, v10
	v_mov_b32_e32 v23, v5
	v_pk_add_f32 v[16:17], v[16:17], v[18:19] neg_lo:[0,1] neg_hi:[0,1]
	s_mov_b32 s13, 0xbeae86e6
	v_mov_b32_e32 v18, v24
	v_mov_b32_e32 v20, v8
	;; [unrolled: 1-line block ×3, first 2 shown]
	v_pk_add_f32 v[22:23], v[12:13], v[22:23] neg_lo:[0,1] neg_hi:[0,1]
	v_mov_b32_e32 v30, v15
	v_mov_b32_e32 v31, v5
	;; [unrolled: 1-line block ×3, first 2 shown]
	v_pk_add_f32 v[4:5], v[4:5], v[10:11]
	v_pk_mul_f32 v[16:17], v[16:17], s[12:13]
	v_pk_add_f32 v[18:19], v[18:19], v[20:21] neg_lo:[0,1] neg_hi:[0,1]
	s_mov_b32 s2, s13
	s_mov_b32 s3, s12
	v_pk_add_f32 v[8:9], v[8:9], v[28:29]
	v_pk_add_f32 v[30:31], v[30:31], v[2:3] neg_lo:[0,1] neg_hi:[0,1]
	v_pk_add_f32 v[6:7], v[6:7], v[4:5]
	s_mov_b32 s16, 0x3f955555
	v_pk_mul_f32 v[10:11], v[22:23], s[18:19]
	s_mov_b32 s20, s19
	s_mov_b32 s21, s18
	v_pk_mul_f32 v[20:21], v[18:19], s[2:3]
	v_pk_add_f32 v[8:9], v[8:9], v[24:25]
	s_mov_b32 s0, 0xbee1c552
	v_pk_mul_f32 v[22:23], v[30:31], s[20:21]
	v_pk_fma_f32 v[4:5], v[4:5], s[16:17], v[6:7] op_sel_hi:[1,0,1] neg_lo:[1,0,0] neg_hi:[1,0,0]
	v_pk_fma_f32 v[30:31], v[30:31], s[20:21], v[10:11]
	v_pk_fma_f32 v[18:19], v[18:19], s[2:3], v[16:17]
	v_pk_add_f32 v[30:31], v[30:31], v[4:5]
	v_pk_fma_f32 v[18:19], v[8:9], s[0:1], v[18:19] op_sel_hi:[1,0,1]
	v_mov_b32_e32 v2, v27
	v_pk_add_f32 v[32:33], v[30:31], v[18:19]
	v_pk_add_f32 v[18:19], v[30:31], v[18:19] neg_lo:[0,1] neg_hi:[0,1]
	v_mov_b32_e32 v30, v32
	v_mov_b32_e32 v31, v19
	;; [unrolled: 1-line block ×3, first 2 shown]
	s_barrier
	ds_write2_b64 v100, v[6:7], v[30:31] offset1:27
	v_pk_add_f32 v[6:7], v[28:29], v[24:25] neg_lo:[0,1] neg_hi:[0,1]
	s_mov_b32 s6, 0xbf5ff5aa
	v_pk_add_f32 v[2:3], v[2:3], v[12:13] neg_lo:[0,1] neg_hi:[0,1]
	s_mov_b32 s14, 0x3f3bfb3b
	v_mov_b32_e32 v12, v22
	v_mov_b32_e32 v13, v11
	;; [unrolled: 1-line block ×6, first 2 shown]
	v_pk_fma_f32 v[12:13], v[2:3], s[14:15], v[12:13] op_sel_hi:[1,0,1] neg_lo:[1,0,1] neg_hi:[1,0,1]
	v_pk_fma_f32 v[14:15], v[6:7], s[6:7], v[14:15] op_sel_hi:[1,0,1] neg_lo:[1,0,1] neg_hi:[1,0,1]
	;; [unrolled: 1-line block ×4, first 2 shown]
	v_pk_add_f32 v[12:13], v[12:13], v[4:5]
	v_pk_fma_f32 v[14:15], v[8:9], s[0:1], v[14:15] op_sel_hi:[1,0,1]
	v_pk_add_f32 v[2:3], v[2:3], v[4:5]
	v_pk_fma_f32 v[4:5], v[8:9], s[0:1], v[6:7] op_sel_hi:[1,0,1]
	v_pk_add_f32 v[24:25], v[12:13], v[14:15]
	v_pk_add_f32 v[12:13], v[12:13], v[14:15] neg_lo:[0,1] neg_hi:[0,1]
	v_pk_add_f32 v[6:7], v[2:3], v[4:5] neg_lo:[0,1] neg_hi:[0,1]
	v_pk_add_f32 v[2:3], v[2:3], v[4:5]
	v_mov_b32_e32 v14, v24
	v_mov_b32_e32 v15, v13
	;; [unrolled: 1-line block ×7, first 2 shown]
	ds_write2_b64 v100, v[14:15], v[4:5] offset0:54 offset1:81
	ds_write2_b64 v100, v[2:3], v[12:13] offset0:108 offset1:135
	ds_write_b64 v100, v[18:19] offset:1296
	s_waitcnt lgkmcnt(0)
	s_barrier
	ds_read2_b64 v[2:5], v48 offset0:58 offset1:247
	ds_read2_b64 v[6:9], v60 offset1:189
	ds_read2_b64 v[10:13], v49 offset0:52 offset1:241
	ds_read_b64 v[16:17], v60 offset:9072
	v_mov_b32_e32 v20, v45
	v_mov_b32_e32 v24, v47
	s_waitcnt lgkmcnt(2)
	v_pk_mul_f32 v[28:29], v[40:41], v[8:9] op_sel_hi:[1,0]
	v_pk_mul_f32 v[22:23], v[44:45], v[4:5] op_sel:[0,1] op_sel_hi:[1,0]
	s_waitcnt lgkmcnt(1)
	v_pk_mul_f32 v[26:27], v[46:47], v[10:11] op_sel:[0,1] op_sel_hi:[1,0]
	v_mov_b32_e32 v22, v23
	v_mov_b32_e32 v26, v27
	v_pk_mul_f32 v[18:19], v[44:45], v[4:5]
	v_pk_mul_f32 v[20:21], v[20:21], v[4:5] op_sel:[0,1] op_sel_hi:[1,0]
	v_pk_fma_f32 v[4:5], v[44:45], v[4:5], v[22:23] op_sel:[0,1,0] op_sel_hi:[1,0,1] neg_lo:[0,0,1] neg_hi:[0,0,1]
	v_pk_mul_f32 v[22:23], v[46:47], v[10:11]
	v_pk_mul_f32 v[24:25], v[24:25], v[10:11] op_sel:[0,1] op_sel_hi:[1,0]
	v_pk_fma_f32 v[10:11], v[46:47], v[10:11], v[26:27] op_sel:[0,1,0] op_sel_hi:[1,0,1] neg_lo:[0,0,1] neg_hi:[0,0,1]
	v_mov_b32_e32 v26, v9
	v_pk_fma_f32 v[8:9], v[40:41], v[8:9], v[28:29] op_sel:[0,1,1] op_sel_hi:[1,1,0]
	v_pk_fma_f32 v[26:27], v[40:41], v[26:27], v[28:29] op_sel:[0,0,1] op_sel_hi:[1,1,0] neg_lo:[0,0,1] neg_hi:[0,0,1]
	v_mov_b32_e32 v8, v3
	v_pk_mul_f32 v[28:29], v[42:43], v[2:3] op_sel_hi:[1,0]
	v_mov_b32_e32 v27, v9
	v_pk_fma_f32 v[8:9], v[42:43], v[8:9], v[28:29] op_sel:[0,0,1] op_sel_hi:[1,1,0] neg_lo:[0,0,1] neg_hi:[0,0,1]
	v_pk_fma_f32 v[2:3], v[42:43], v[2:3], v[28:29] op_sel:[0,1,1] op_sel_hi:[1,1,0]
	v_pk_mul_f32 v[28:29], v[36:37], v[12:13] op_sel_hi:[1,0]
	v_mov_b32_e32 v2, v13
	v_pk_fma_f32 v[12:13], v[36:37], v[12:13], v[28:29] op_sel:[0,1,1] op_sel_hi:[1,1,0]
	v_mov_b32_e32 v9, v3
	v_pk_fma_f32 v[2:3], v[36:37], v[2:3], v[28:29] op_sel:[0,0,1] op_sel_hi:[1,1,0] neg_lo:[0,0,1] neg_hi:[0,0,1]
	s_waitcnt lgkmcnt(0)
	v_mov_b32_e32 v12, v17
	v_pk_mul_f32 v[28:29], v[38:39], v[16:17] op_sel_hi:[1,0]
	v_mov_b32_e32 v3, v13
	v_pk_fma_f32 v[12:13], v[38:39], v[12:13], v[28:29] op_sel:[0,0,1] op_sel_hi:[1,1,0] neg_lo:[0,0,1] neg_hi:[0,0,1]
	v_pk_fma_f32 v[16:17], v[38:39], v[16:17], v[28:29] op_sel:[0,1,1] op_sel_hi:[1,1,0]
	v_mov_b32_e32 v23, v26
	v_mov_b32_e32 v13, v17
	;; [unrolled: 1-line block ×5, first 2 shown]
	v_pk_add_f32 v[16:17], v[26:27], v[12:13]
	v_pk_add_f32 v[28:29], v[26:27], v[12:13] neg_lo:[0,1] neg_hi:[0,1]
	v_pk_add_f32 v[30:31], v[8:9], v[2:3]
	v_pk_add_f32 v[32:33], v[8:9], v[2:3] neg_lo:[0,1] neg_hi:[0,1]
	v_pk_add_f32 v[12:13], v[22:23], v[24:25]
	v_pk_add_f32 v[2:3], v[18:19], v[20:21]
	v_mov_b32_e32 v11, v12
	v_mov_b32_e32 v5, v2
	v_pk_add_f32 v[8:9], v[10:11], v[4:5] neg_lo:[0,1] neg_hi:[0,1]
	v_mov_b32_e32 v24, v31
	v_mov_b32_e32 v25, v4
	;; [unrolled: 1-line block ×4, first 2 shown]
	v_pk_add_f32 v[4:5], v[24:25], v[4:5]
	v_pk_add_f32 v[10:11], v[2:3], v[12:13]
	v_mov_b32_e32 v18, v8
	v_mov_b32_e32 v19, v29
	;; [unrolled: 1-line block ×6, first 2 shown]
	v_pk_add_f32 v[18:19], v[18:19], v[20:21] neg_lo:[0,1] neg_hi:[0,1]
	v_mov_b32_e32 v20, v28
	v_mov_b32_e32 v22, v8
	;; [unrolled: 1-line block ×3, first 2 shown]
	v_pk_add_f32 v[24:25], v[12:13], v[24:25] neg_lo:[0,1] neg_hi:[0,1]
	v_mov_b32_e32 v26, v17
	v_mov_b32_e32 v27, v5
	;; [unrolled: 1-line block ×3, first 2 shown]
	v_pk_add_f32 v[4:5], v[4:5], v[10:11]
	v_pk_mul_f32 v[18:19], v[18:19], s[12:13]
	v_pk_add_f32 v[20:21], v[20:21], v[22:23] neg_lo:[0,1] neg_hi:[0,1]
	v_pk_add_f32 v[8:9], v[8:9], v[32:33]
	v_pk_add_f32 v[26:27], v[26:27], v[2:3] neg_lo:[0,1] neg_hi:[0,1]
	v_pk_add_f32 v[6:7], v[6:7], v[4:5]
	v_pk_mul_f32 v[10:11], v[24:25], s[18:19]
	v_pk_mul_f32 v[22:23], v[20:21], s[2:3]
	v_pk_add_f32 v[8:9], v[8:9], v[28:29]
	v_pk_mul_f32 v[24:25], v[26:27], s[20:21]
	v_pk_fma_f32 v[4:5], v[4:5], s[16:17], v[6:7] op_sel_hi:[1,0,1] neg_lo:[1,0,0] neg_hi:[1,0,0]
	v_pk_fma_f32 v[26:27], v[26:27], s[20:21], v[10:11]
	v_pk_fma_f32 v[20:21], v[20:21], s[2:3], v[18:19]
	v_pk_add_f32 v[26:27], v[26:27], v[4:5]
	v_pk_fma_f32 v[20:21], v[8:9], s[0:1], v[20:21] op_sel_hi:[1,0,1]
	v_mov_b32_e32 v2, v31
	v_pk_add_f32 v[34:35], v[26:27], v[20:21]
	v_pk_add_f32 v[20:21], v[26:27], v[20:21] neg_lo:[0,1] neg_hi:[0,1]
	v_mov_b32_e32 v26, v34
	v_mov_b32_e32 v27, v21
	;; [unrolled: 1-line block ×3, first 2 shown]
	ds_write2_b64 v60, v[6:7], v[26:27] offset1:189
	v_pk_add_f32 v[6:7], v[32:33], v[28:29] neg_lo:[0,1] neg_hi:[0,1]
	v_pk_add_f32 v[2:3], v[2:3], v[12:13] neg_lo:[0,1] neg_hi:[0,1]
	v_mov_b32_e32 v12, v24
	v_mov_b32_e32 v13, v11
	;; [unrolled: 1-line block ×6, first 2 shown]
	v_pk_fma_f32 v[12:13], v[2:3], s[14:15], v[12:13] op_sel_hi:[1,0,1] neg_lo:[1,0,1] neg_hi:[1,0,1]
	v_pk_fma_f32 v[16:17], v[6:7], s[6:7], v[16:17] op_sel_hi:[1,0,1] neg_lo:[1,0,1] neg_hi:[1,0,1]
	;; [unrolled: 1-line block ×4, first 2 shown]
	v_pk_add_f32 v[12:13], v[12:13], v[4:5]
	v_pk_fma_f32 v[16:17], v[8:9], s[0:1], v[16:17] op_sel_hi:[1,0,1]
	v_pk_add_f32 v[2:3], v[2:3], v[4:5]
	v_pk_fma_f32 v[4:5], v[8:9], s[0:1], v[6:7] op_sel_hi:[1,0,1]
	v_pk_add_f32 v[26:27], v[12:13], v[16:17]
	v_pk_add_f32 v[12:13], v[12:13], v[16:17] neg_lo:[0,1] neg_hi:[0,1]
	v_pk_add_f32 v[6:7], v[2:3], v[4:5] neg_lo:[0,1] neg_hi:[0,1]
	v_pk_add_f32 v[2:3], v[2:3], v[4:5]
	v_mov_b32_e32 v16, v26
	v_mov_b32_e32 v17, v13
	;; [unrolled: 1-line block ×7, first 2 shown]
	ds_write2_b64 v48, v[16:17], v[4:5] offset0:58 offset1:247
	ds_write2_b64 v49, v[2:3], v[12:13] offset0:52 offset1:241
	ds_write_b64 v60, v[20:21] offset:9072
	s_waitcnt lgkmcnt(0)
	s_barrier
	ds_read2_b64 v[2:5], v60 offset1:189
	v_mad_u64_u32 v[14:15], s[22:23], s10, v66, 0
	v_mov_b32_e32 v6, v15
	v_mad_u64_u32 v[6:7], s[0:1], s11, v66, v[6:7]
	v_mov_b32_e32 v15, v6
	s_waitcnt lgkmcnt(0)
	v_mul_f32_e32 v6, v77, v3
	v_fmac_f32_e32 v6, v76, v2
	v_mul_f32_e32 v2, v77, v2
	s_mov_b32 s0, 0x7a4ab0dc
	v_fma_f32 v2, v76, v3, -v2
	s_mov_b32 s1, 0x3f48c498
	v_cvt_f64_f32_e32 v[2:3], v2
	v_cvt_f64_f32_e32 v[6:7], v6
	v_mul_f64 v[2:3], v[2:3], s[0:1]
	v_mul_f64 v[6:7], v[6:7], s[0:1]
	v_cvt_f32_f64_e32 v11, v[2:3]
	v_mad_u64_u32 v[2:3], s[2:3], s8, v64, 0
	v_cvt_f32_f64_e32 v10, v[6:7]
	v_mov_b32_e32 v6, v3
	v_add_u32_e32 v3, 0xc00, v60
	v_mad_u64_u32 v[12:13], s[2:3], s9, v64, v[6:7]
	ds_read2_b64 v[6:9], v3 offset0:57 offset1:246
	v_mov_b32_e32 v3, v12
	v_lshl_add_u64 v[0:1], v[14:15], 3, v[0:1]
	v_lshl_add_u64 v[12:13], v[2:3], 3, v[0:1]
	global_store_dwordx2 v[12:13], v[10:11], off
	s_waitcnt lgkmcnt(0)
	v_mul_f32_e32 v0, v79, v7
	v_fmac_f32_e32 v0, v78, v6
	v_cvt_f64_f32_e32 v[0:1], v0
	v_mul_f64 v[0:1], v[0:1], s[0:1]
	v_cvt_f32_f64_e32 v10, v[0:1]
	v_mul_f32_e32 v0, v79, v6
	v_fma_f32 v0, v78, v7, -v0
	v_cvt_f64_f32_e32 v[0:1], v0
	v_mul_f64 v[0:1], v[0:1], s[0:1]
	v_cvt_f32_f64_e32 v11, v[0:1]
	v_add_u32_e32 v0, 0x1a00, v60
	ds_read2_b64 v[0:3], v0 offset0:50 offset1:239
	s_mul_i32 s2, s9, 0x1b9
	s_mul_hi_u32 s3, s8, 0x1b9
	s_add_i32 s3, s3, s2
	s_mul_i32 s2, s8, 0x1b9
	s_lshl_b64 s[2:3], s[2:3], 3
	v_lshl_add_u64 v[6:7], v[12:13], 0, s[2:3]
	global_store_dwordx2 v[6:7], v[10:11], off
	s_waitcnt lgkmcnt(0)
	v_mul_f32_e32 v10, v73, v1
	v_fmac_f32_e32 v10, v72, v0
	v_mul_f32_e32 v0, v73, v0
	v_fma_f32 v0, v72, v1, -v0
	v_cvt_f64_f32_e32 v[10:11], v10
	v_cvt_f64_f32_e32 v[0:1], v0
	v_mul_f64 v[10:11], v[10:11], s[0:1]
	v_mul_f64 v[0:1], v[0:1], s[0:1]
	v_cvt_f32_f64_e32 v10, v[10:11]
	v_cvt_f32_f64_e32 v11, v[0:1]
	v_lshl_add_u64 v[0:1], v[6:7], 0, s[2:3]
	v_mul_f32_e32 v6, v75, v5
	v_fmac_f32_e32 v6, v74, v4
	v_mul_f32_e32 v4, v75, v4
	v_fma_f32 v4, v74, v5, -v4
	v_cvt_f64_f32_e32 v[6:7], v6
	v_cvt_f64_f32_e32 v[4:5], v4
	v_mul_f64 v[6:7], v[6:7], s[0:1]
	v_mul_f64 v[4:5], v[4:5], s[0:1]
	v_cvt_f32_f64_e32 v6, v[6:7]
	v_cvt_f32_f64_e32 v7, v[4:5]
	v_mul_f32_e32 v4, v69, v9
	v_fmac_f32_e32 v4, v68, v8
	s_mul_hi_u32 s7, s8, 0xfffffd4b
	v_cvt_f64_f32_e32 v[4:5], v4
	s_mul_i32 s6, s9, 0xfffffd4b
	s_sub_i32 s7, s7, s8
	v_mul_f64 v[4:5], v[4:5], s[0:1]
	s_add_i32 s7, s7, s6
	s_mul_i32 s6, s8, 0xfffffd4b
	v_cvt_f32_f64_e32 v4, v[4:5]
	v_mul_f32_e32 v5, v69, v8
	global_store_dwordx2 v[0:1], v[10:11], off
	v_lshl_add_u64 v[0:1], s[6:7], 3, v[0:1]
	v_fma_f32 v5, v68, v9, -v5
	global_store_dwordx2 v[0:1], v[6:7], off
	v_cvt_f64_f32_e32 v[6:7], v5
	v_mul_f64 v[6:7], v[6:7], s[0:1]
	v_cvt_f32_f64_e32 v5, v[6:7]
	v_lshl_add_u64 v[0:1], v[0:1], 0, s[2:3]
	global_store_dwordx2 v[0:1], v[4:5], off
	v_mul_f32_e32 v4, v71, v3
	v_fmac_f32_e32 v4, v70, v2
	v_mul_f32_e32 v2, v71, v2
	v_fma_f32 v2, v70, v3, -v2
	v_cvt_f64_f32_e32 v[4:5], v4
	v_cvt_f64_f32_e32 v[2:3], v2
	v_mul_f64 v[4:5], v[4:5], s[0:1]
	v_mul_f64 v[2:3], v[2:3], s[0:1]
	v_cvt_f32_f64_e32 v4, v[4:5]
	v_cvt_f32_f64_e32 v5, v[2:3]
	v_lshl_add_u64 v[0:1], v[0:1], 0, s[2:3]
	global_store_dwordx2 v[0:1], v[4:5], off
	s_and_b64 exec, exec, s[4:5]
	s_cbranch_execz .LBB0_31
; %bb.30:
	s_movk_i32 s4, 0x1000
	v_add_co_u32_e32 v4, vcc, s4, v62
	global_load_dwordx2 v[2:3], v[62:63], off offset:3024
	s_nop 0
	v_addc_co_u32_e32 v5, vcc, 0, v63, vcc
	s_movk_i32 s4, 0x2000
	v_add_co_u32_e32 v6, vcc, s4, v62
	global_load_dwordx2 v[4:5], v[4:5], off offset:2456
	s_nop 0
	v_addc_co_u32_e32 v7, vcc, 0, v63, vcc
	global_load_dwordx2 v[6:7], v[6:7], off offset:1888
	ds_read_b64 v[8:9], v60 offset:3024
	ds_read_b64 v[10:11], v60 offset:6552
	;; [unrolled: 1-line block ×3, first 2 shown]
	v_lshl_add_u64 v[0:1], s[6:7], 3, v[0:1]
	v_lshl_add_u64 v[14:15], v[0:1], 0, s[2:3]
	v_lshl_add_u64 v[16:17], v[14:15], 0, s[2:3]
	s_waitcnt vmcnt(2) lgkmcnt(2)
	v_mul_f32_e32 v18, v9, v3
	v_mul_f32_e32 v3, v8, v3
	v_fmac_f32_e32 v18, v8, v2
	v_fma_f32 v8, v2, v9, -v3
	v_cvt_f64_f32_e32 v[2:3], v18
	v_cvt_f64_f32_e32 v[8:9], v8
	s_waitcnt vmcnt(1) lgkmcnt(1)
	v_mul_f32_e32 v18, v11, v5
	v_mul_f32_e32 v5, v10, v5
	v_mul_f64 v[2:3], v[2:3], s[0:1]
	s_waitcnt vmcnt(0) lgkmcnt(0)
	v_mul_f32_e32 v19, v13, v7
	v_mul_f32_e32 v7, v12, v7
	v_mul_f64 v[8:9], v[8:9], s[0:1]
	v_fmac_f32_e32 v18, v10, v4
	v_fma_f32 v10, v4, v11, -v5
	v_fmac_f32_e32 v19, v12, v6
	v_fma_f32 v11, v6, v13, -v7
	v_cvt_f32_f64_e32 v2, v[2:3]
	v_cvt_f32_f64_e32 v3, v[8:9]
	v_cvt_f64_f32_e32 v[4:5], v18
	v_cvt_f64_f32_e32 v[6:7], v10
	;; [unrolled: 1-line block ×4, first 2 shown]
	global_store_dwordx2 v[0:1], v[2:3], off
	v_mul_f64 v[0:1], v[4:5], s[0:1]
	v_mul_f64 v[2:3], v[6:7], s[0:1]
	;; [unrolled: 1-line block ×4, first 2 shown]
	v_cvt_f32_f64_e32 v0, v[0:1]
	v_cvt_f32_f64_e32 v1, v[2:3]
	;; [unrolled: 1-line block ×4, first 2 shown]
	global_store_dwordx2 v[14:15], v[0:1], off
	global_store_dwordx2 v[16:17], v[2:3], off
.LBB0_31:
	s_endpgm
	.section	.rodata,"a",@progbits
	.p2align	6, 0x0
	.amdhsa_kernel bluestein_single_fwd_len1323_dim1_sp_op_CI_CI
		.amdhsa_group_segment_fixed_size 10584
		.amdhsa_private_segment_fixed_size 0
		.amdhsa_kernarg_size 104
		.amdhsa_user_sgpr_count 2
		.amdhsa_user_sgpr_dispatch_ptr 0
		.amdhsa_user_sgpr_queue_ptr 0
		.amdhsa_user_sgpr_kernarg_segment_ptr 1
		.amdhsa_user_sgpr_dispatch_id 0
		.amdhsa_user_sgpr_kernarg_preload_length 0
		.amdhsa_user_sgpr_kernarg_preload_offset 0
		.amdhsa_user_sgpr_private_segment_size 0
		.amdhsa_uses_dynamic_stack 0
		.amdhsa_enable_private_segment 0
		.amdhsa_system_sgpr_workgroup_id_x 1
		.amdhsa_system_sgpr_workgroup_id_y 0
		.amdhsa_system_sgpr_workgroup_id_z 0
		.amdhsa_system_sgpr_workgroup_info 0
		.amdhsa_system_vgpr_workitem_id 0
		.amdhsa_next_free_vgpr 111
		.amdhsa_next_free_sgpr 26
		.amdhsa_accum_offset 112
		.amdhsa_reserve_vcc 1
		.amdhsa_float_round_mode_32 0
		.amdhsa_float_round_mode_16_64 0
		.amdhsa_float_denorm_mode_32 3
		.amdhsa_float_denorm_mode_16_64 3
		.amdhsa_dx10_clamp 1
		.amdhsa_ieee_mode 1
		.amdhsa_fp16_overflow 0
		.amdhsa_tg_split 0
		.amdhsa_exception_fp_ieee_invalid_op 0
		.amdhsa_exception_fp_denorm_src 0
		.amdhsa_exception_fp_ieee_div_zero 0
		.amdhsa_exception_fp_ieee_overflow 0
		.amdhsa_exception_fp_ieee_underflow 0
		.amdhsa_exception_fp_ieee_inexact 0
		.amdhsa_exception_int_div_zero 0
	.end_amdhsa_kernel
	.text
.Lfunc_end0:
	.size	bluestein_single_fwd_len1323_dim1_sp_op_CI_CI, .Lfunc_end0-bluestein_single_fwd_len1323_dim1_sp_op_CI_CI
                                        ; -- End function
	.section	.AMDGPU.csdata,"",@progbits
; Kernel info:
; codeLenInByte = 9316
; NumSgprs: 32
; NumVgprs: 111
; NumAgprs: 0
; TotalNumVgprs: 111
; ScratchSize: 0
; MemoryBound: 0
; FloatMode: 240
; IeeeMode: 1
; LDSByteSize: 10584 bytes/workgroup (compile time only)
; SGPRBlocks: 3
; VGPRBlocks: 13
; NumSGPRsForWavesPerEU: 32
; NumVGPRsForWavesPerEU: 111
; AccumOffset: 112
; Occupancy: 4
; WaveLimiterHint : 1
; COMPUTE_PGM_RSRC2:SCRATCH_EN: 0
; COMPUTE_PGM_RSRC2:USER_SGPR: 2
; COMPUTE_PGM_RSRC2:TRAP_HANDLER: 0
; COMPUTE_PGM_RSRC2:TGID_X_EN: 1
; COMPUTE_PGM_RSRC2:TGID_Y_EN: 0
; COMPUTE_PGM_RSRC2:TGID_Z_EN: 0
; COMPUTE_PGM_RSRC2:TIDIG_COMP_CNT: 0
; COMPUTE_PGM_RSRC3_GFX90A:ACCUM_OFFSET: 27
; COMPUTE_PGM_RSRC3_GFX90A:TG_SPLIT: 0
	.text
	.p2alignl 6, 3212836864
	.fill 256, 4, 3212836864
	.type	__hip_cuid_406bbac90803a032,@object ; @__hip_cuid_406bbac90803a032
	.section	.bss,"aw",@nobits
	.globl	__hip_cuid_406bbac90803a032
__hip_cuid_406bbac90803a032:
	.byte	0                               ; 0x0
	.size	__hip_cuid_406bbac90803a032, 1

	.ident	"AMD clang version 19.0.0git (https://github.com/RadeonOpenCompute/llvm-project roc-6.4.0 25133 c7fe45cf4b819c5991fe208aaa96edf142730f1d)"
	.section	".note.GNU-stack","",@progbits
	.addrsig
	.addrsig_sym __hip_cuid_406bbac90803a032
	.amdgpu_metadata
---
amdhsa.kernels:
  - .agpr_count:     0
    .args:
      - .actual_access:  read_only
        .address_space:  global
        .offset:         0
        .size:           8
        .value_kind:     global_buffer
      - .actual_access:  read_only
        .address_space:  global
        .offset:         8
        .size:           8
        .value_kind:     global_buffer
      - .actual_access:  read_only
        .address_space:  global
        .offset:         16
        .size:           8
        .value_kind:     global_buffer
      - .actual_access:  read_only
        .address_space:  global
        .offset:         24
        .size:           8
        .value_kind:     global_buffer
      - .actual_access:  read_only
        .address_space:  global
        .offset:         32
        .size:           8
        .value_kind:     global_buffer
      - .offset:         40
        .size:           8
        .value_kind:     by_value
      - .address_space:  global
        .offset:         48
        .size:           8
        .value_kind:     global_buffer
      - .address_space:  global
        .offset:         56
        .size:           8
        .value_kind:     global_buffer
      - .address_space:  global
        .offset:         64
        .size:           8
        .value_kind:     global_buffer
      - .address_space:  global
        .offset:         72
        .size:           8
        .value_kind:     global_buffer
      - .offset:         80
        .size:           4
        .value_kind:     by_value
      - .address_space:  global
        .offset:         88
        .size:           8
        .value_kind:     global_buffer
      - .address_space:  global
        .offset:         96
        .size:           8
        .value_kind:     global_buffer
    .group_segment_fixed_size: 10584
    .kernarg_segment_align: 8
    .kernarg_segment_size: 104
    .language:       OpenCL C
    .language_version:
      - 2
      - 0
    .max_flat_workgroup_size: 189
    .name:           bluestein_single_fwd_len1323_dim1_sp_op_CI_CI
    .private_segment_fixed_size: 0
    .sgpr_count:     32
    .sgpr_spill_count: 0
    .symbol:         bluestein_single_fwd_len1323_dim1_sp_op_CI_CI.kd
    .uniform_work_group_size: 1
    .uses_dynamic_stack: false
    .vgpr_count:     111
    .vgpr_spill_count: 0
    .wavefront_size: 64
amdhsa.target:   amdgcn-amd-amdhsa--gfx950
amdhsa.version:
  - 1
  - 2
...

	.end_amdgpu_metadata
